;; amdgpu-corpus repo=ROCm/rocFFT kind=compiled arch=gfx1201 opt=O3
	.text
	.amdgcn_target "amdgcn-amd-amdhsa--gfx1201"
	.amdhsa_code_object_version 6
	.protected	bluestein_single_fwd_len1224_dim1_dp_op_CI_CI ; -- Begin function bluestein_single_fwd_len1224_dim1_dp_op_CI_CI
	.globl	bluestein_single_fwd_len1224_dim1_dp_op_CI_CI
	.p2align	8
	.type	bluestein_single_fwd_len1224_dim1_dp_op_CI_CI,@function
bluestein_single_fwd_len1224_dim1_dp_op_CI_CI: ; @bluestein_single_fwd_len1224_dim1_dp_op_CI_CI
; %bb.0:
	s_load_b128 s[4:7], s[0:1], 0x28
	v_mul_u32_u24_e32 v1, 0x283, v0
	v_mov_b32_e32 v253, 0
	s_mov_b32 s2, exec_lo
	s_delay_alu instid0(VALU_DEP_2) | instskip(NEXT) | instid1(VALU_DEP_1)
	v_lshrrev_b32_e32 v1, 16, v1
	v_lshl_add_u32 v252, ttmp9, 1, v1
	s_wait_kmcnt 0x0
	s_delay_alu instid0(VALU_DEP_1)
	v_cmpx_gt_u64_e64 s[4:5], v[252:253]
	s_cbranch_execz .LBB0_15
; %bb.1:
	v_mul_lo_u16 v2, 0x66, v1
	s_clause 0x1
	s_load_b64 s[12:13], s[0:1], 0x0
	s_load_b64 s[14:15], s[0:1], 0x38
	v_and_b32_e32 v1, 1, v1
	v_sub_nc_u16 v0, v0, v2
	s_delay_alu instid0(VALU_DEP_2) | instskip(NEXT) | instid1(VALU_DEP_2)
	v_cmp_eq_u32_e32 vcc_lo, 1, v1
	v_and_b32_e32 v253, 0xffff, v0
	v_cndmask_b32_e64 v210, 0, 0x4c8, vcc_lo
	v_cmp_gt_u16_e32 vcc_lo, 0x48, v0
	s_delay_alu instid0(VALU_DEP_3) | instskip(SKIP_1) | instid1(VALU_DEP_4)
	v_lshlrev_b32_e32 v255, 4, v253
	v_or_b32_e32 v251, 0x480, v253
	v_lshlrev_b32_e32 v254, 4, v210
	s_and_saveexec_b32 s3, vcc_lo
	s_cbranch_execz .LBB0_3
; %bb.2:
	s_load_b64 s[4:5], s[0:1], 0x18
	s_wait_kmcnt 0x0
	s_load_b128 s[8:11], s[4:5], 0x0
	s_clause 0x7
	global_load_b128 v[0:3], v255, s[12:13]
	global_load_b128 v[4:7], v255, s[12:13] offset:1152
	global_load_b128 v[8:11], v255, s[12:13] offset:2304
	;; [unrolled: 1-line block ×7, first 2 shown]
	s_wait_kmcnt 0x0
	v_mad_co_u64_u32 v[56:57], null, s10, v252, 0
	v_mad_co_u64_u32 v[60:61], null, s8, v253, 0
	;; [unrolled: 1-line block ×3, first 2 shown]
	s_mul_u64 s[4:5], s[8:9], 0x480
	s_delay_alu instid0(VALU_DEP_2) | instskip(NEXT) | instid1(VALU_DEP_1)
	v_dual_mov_b32 v32, v57 :: v_dual_mov_b32 v33, v61
	v_mad_co_u64_u32 v[48:49], null, s11, v252, v[32:33]
	v_mad_co_u64_u32 v[58:59], null, s9, v253, v[33:34]
	s_clause 0x3
	global_load_b128 v[32:35], v255, s[12:13] offset:9216
	global_load_b128 v[36:39], v255, s[12:13] offset:10368
	;; [unrolled: 1-line block ×4, first 2 shown]
	v_mov_b32_e32 v57, v48
	s_clause 0x1
	global_load_b128 v[48:51], v255, s[12:13] offset:13824
	global_load_b128 v[52:55], v255, s[12:13] offset:14976
	v_mov_b32_e32 v61, v58
	v_lshlrev_b64_e32 v[64:65], 4, v[56:57]
	global_load_b128 v[56:59], v255, s[12:13] offset:18432
	v_lshlrev_b64_e32 v[60:61], 4, v[60:61]
	v_mad_co_u64_u32 v[66:67], null, s9, v251, v[63:64]
	v_add_co_u32 v67, s2, s6, v64
	s_delay_alu instid0(VALU_DEP_1) | instskip(NEXT) | instid1(VALU_DEP_2)
	v_add_co_ci_u32_e64 v70, s2, s7, v65, s2
	v_add_co_u32 v64, s2, v67, v60
	s_wait_alu 0xf1ff
	s_delay_alu instid0(VALU_DEP_2)
	v_add_co_ci_u32_e64 v65, s2, v70, v61, s2
	v_mov_b32_e32 v63, v66
	s_wait_alu 0xfffe
	v_add_co_u32 v68, s2, v64, s4
	s_wait_alu 0xf1ff
	v_add_co_ci_u32_e64 v69, s2, s5, v65, s2
	v_lshlrev_b64_e32 v[60:61], 4, v[62:63]
	s_delay_alu instid0(VALU_DEP_3) | instskip(SKIP_1) | instid1(VALU_DEP_3)
	v_add_co_u32 v72, s2, v68, s4
	s_wait_alu 0xf1ff
	v_add_co_ci_u32_e64 v73, s2, s5, v69, s2
	s_delay_alu instid0(VALU_DEP_3)
	v_add_co_u32 v60, s2, v67, v60
	s_wait_alu 0xf1ff
	v_add_co_ci_u32_e64 v61, s2, v70, v61, s2
	v_add_co_u32 v76, s2, v72, s4
	s_wait_alu 0xf1ff
	v_add_co_ci_u32_e64 v77, s2, s5, v73, s2
	global_load_b128 v[60:63], v[60:61], off
	v_add_co_u32 v80, s2, v76, s4
	s_wait_alu 0xf1ff
	v_add_co_ci_u32_e64 v81, s2, s5, v77, s2
	s_clause 0x1
	global_load_b128 v[64:67], v[64:65], off
	global_load_b128 v[68:71], v[68:69], off
	v_add_co_u32 v84, s2, v80, s4
	s_wait_alu 0xf1ff
	v_add_co_ci_u32_e64 v85, s2, s5, v81, s2
	s_clause 0x1
	global_load_b128 v[72:75], v[72:73], off
	global_load_b128 v[76:79], v[76:77], off
	v_add_co_u32 v88, s2, v84, s4
	s_wait_alu 0xf1ff
	v_add_co_ci_u32_e64 v89, s2, s5, v85, s2
	global_load_b128 v[80:83], v[80:81], off
	v_add_co_u32 v92, s2, v88, s4
	s_wait_alu 0xf1ff
	v_add_co_ci_u32_e64 v93, s2, s5, v89, s2
	;; [unrolled: 4-line block ×10, first 2 shown]
	global_load_b128 v[116:119], v[116:117], off
	global_load_b128 v[120:123], v[120:121], off
	s_clause 0x1
	global_load_b128 v[124:127], v255, s[12:13] offset:16128
	global_load_b128 v[128:131], v255, s[12:13] offset:17280
	global_load_b128 v[132:135], v[132:133], off
	s_wait_loadcnt 0x12
	v_mul_f64_e32 v[138:139], v[62:63], v[58:59]
	v_mul_f64_e32 v[170:171], v[60:61], v[58:59]
	s_wait_loadcnt 0x11
	v_mul_f64_e32 v[136:137], v[66:67], v[2:3]
	v_mul_f64_e32 v[2:3], v[64:65], v[2:3]
	s_wait_loadcnt 0x10
	v_mul_f64_e32 v[140:141], v[70:71], v[6:7]
	v_mul_f64_e32 v[6:7], v[68:69], v[6:7]
	s_wait_loadcnt 0xf
	v_mul_f64_e32 v[142:143], v[74:75], v[10:11]
	v_mul_f64_e32 v[10:11], v[72:73], v[10:11]
	s_wait_loadcnt 0xe
	v_mul_f64_e32 v[144:145], v[78:79], v[14:15]
	v_mul_f64_e32 v[14:15], v[76:77], v[14:15]
	s_wait_loadcnt 0xd
	v_mul_f64_e32 v[146:147], v[82:83], v[18:19]
	v_mul_f64_e32 v[18:19], v[80:81], v[18:19]
	s_wait_loadcnt 0xc
	v_mul_f64_e32 v[148:149], v[86:87], v[22:23]
	v_mul_f64_e32 v[22:23], v[84:85], v[22:23]
	s_wait_loadcnt 0xb
	v_mul_f64_e32 v[150:151], v[90:91], v[26:27]
	v_mul_f64_e32 v[26:27], v[88:89], v[26:27]
	s_wait_loadcnt 0xa
	v_mul_f64_e32 v[152:153], v[94:95], v[30:31]
	v_mul_f64_e32 v[30:31], v[92:93], v[30:31]
	s_wait_loadcnt 0x9
	v_mul_f64_e32 v[154:155], v[98:99], v[34:35]
	v_mul_f64_e32 v[34:35], v[96:97], v[34:35]
	s_wait_loadcnt 0x8
	v_mul_f64_e32 v[156:157], v[102:103], v[38:39]
	v_mul_f64_e32 v[38:39], v[100:101], v[38:39]
	v_fma_f64 v[64:65], v[64:65], v[0:1], v[136:137]
	v_fma_f64 v[66:67], v[66:67], v[0:1], -v[2:3]
	v_fma_f64 v[0:1], v[60:61], v[56:57], v[138:139]
	s_wait_loadcnt 0x7
	v_mul_f64_e32 v[158:159], v[106:107], v[42:43]
	v_mul_f64_e32 v[42:43], v[104:105], v[42:43]
	v_fma_f64 v[58:59], v[68:69], v[4:5], v[140:141]
	v_fma_f64 v[60:61], v[70:71], v[4:5], -v[6:7]
	v_fma_f64 v[4:5], v[72:73], v[8:9], v[142:143]
	s_wait_loadcnt 0x6
	v_mul_f64_e32 v[160:161], v[110:111], v[46:47]
	v_mul_f64_e32 v[46:47], v[108:109], v[46:47]
	v_fma_f64 v[6:7], v[74:75], v[8:9], -v[10:11]
	v_fma_f64 v[8:9], v[76:77], v[12:13], v[144:145]
	v_fma_f64 v[10:11], v[78:79], v[12:13], -v[14:15]
	s_wait_loadcnt 0x5
	v_mul_f64_e32 v[162:163], v[114:115], v[50:51]
	v_mul_f64_e32 v[50:51], v[112:113], v[50:51]
	s_wait_loadcnt 0x4
	v_mul_f64_e32 v[164:165], v[118:119], v[54:55]
	v_mul_f64_e32 v[54:55], v[116:117], v[54:55]
	;; [unrolled: 3-line block ×4, first 2 shown]
	v_fma_f64 v[12:13], v[80:81], v[16:17], v[146:147]
	v_fma_f64 v[14:15], v[82:83], v[16:17], -v[18:19]
	v_fma_f64 v[16:17], v[84:85], v[20:21], v[148:149]
	v_fma_f64 v[18:19], v[86:87], v[20:21], -v[22:23]
	;; [unrolled: 2-line block ×4, first 2 shown]
	v_fma_f64 v[2:3], v[62:63], v[56:57], -v[170:171]
	v_lshl_add_u32 v56, v253, 4, v254
	v_fma_f64 v[28:29], v[96:97], v[32:33], v[154:155]
	v_fma_f64 v[30:31], v[98:99], v[32:33], -v[34:35]
	v_add_nc_u32_e32 v57, v254, v255
	v_fma_f64 v[32:33], v[100:101], v[36:37], v[156:157]
	v_fma_f64 v[34:35], v[102:103], v[36:37], -v[38:39]
	v_fma_f64 v[36:37], v[104:105], v[40:41], v[158:159]
	v_fma_f64 v[38:39], v[106:107], v[40:41], -v[42:43]
	;; [unrolled: 2-line block ×7, first 2 shown]
	ds_store_b128 v56, v[64:67]
	ds_store_b128 v57, v[58:61] offset:1152
	ds_store_b128 v57, v[4:7] offset:2304
	;; [unrolled: 1-line block ×16, first 2 shown]
.LBB0_3:
	s_or_b32 exec_lo, exec_lo, s3
	s_clause 0x1
	s_load_b64 s[4:5], s[0:1], 0x20
	s_load_b64 s[2:3], s[0:1], 0x8
	global_wb scope:SCOPE_SE
	s_wait_dscnt 0x0
	s_wait_kmcnt 0x0
	s_barrier_signal -1
	s_barrier_wait -1
	global_inv scope:SCOPE_SE
                                        ; implicit-def: $vgpr12_vgpr13
                                        ; implicit-def: $vgpr28_vgpr29
                                        ; implicit-def: $vgpr32_vgpr33
                                        ; implicit-def: $vgpr48_vgpr49
                                        ; implicit-def: $vgpr64_vgpr65
                                        ; implicit-def: $vgpr72_vgpr73
                                        ; implicit-def: $vgpr80_vgpr81
                                        ; implicit-def: $vgpr52_vgpr53
                                        ; implicit-def: $vgpr24_vgpr25
                                        ; implicit-def: $vgpr20_vgpr21
                                        ; implicit-def: $vgpr16_vgpr17
                                        ; implicit-def: $vgpr76_vgpr77
                                        ; implicit-def: $vgpr68_vgpr69
                                        ; implicit-def: $vgpr60_vgpr61
                                        ; implicit-def: $vgpr56_vgpr57
                                        ; implicit-def: $vgpr40_vgpr41
                                        ; implicit-def: $vgpr36_vgpr37
	s_and_saveexec_b32 s0, vcc_lo
	s_cbranch_execz .LBB0_5
; %bb.4:
	v_lshl_add_u32 v0, v210, 4, v255
	ds_load_b128 v[12:15], v0
	ds_load_b128 v[36:39], v0 offset:1152
	ds_load_b128 v[40:43], v0 offset:2304
	;; [unrolled: 1-line block ×16, first 2 shown]
.LBB0_5:
	s_wait_alu 0xfffe
	s_or_b32 exec_lo, exec_lo, s0
	s_wait_dscnt 0x0
	v_add_f64_e64 v[168:169], v[38:39], -v[18:19]
	s_mov_b32 s0, 0x5d8e7cdc
	s_mov_b32 s1, 0xbfd71e95
	v_add_f64_e32 v[164:165], v[16:17], v[36:37]
	v_add_f64_e64 v[102:103], v[42:43], -v[22:23]
	v_add_f64_e64 v[100:101], v[40:41], -v[20:21]
	s_mov_b32 s6, 0x370991
	s_mov_b32 s10, 0x2a9d6da3
	;; [unrolled: 1-line block ×4, first 2 shown]
	v_add_f64_e32 v[84:85], v[20:21], v[40:41]
	s_mov_b32 s8, 0x75d4884
	s_mov_b32 s9, 0x3fe7a5f6
	v_add_f64_e64 v[182:183], v[36:37], -v[16:17]
	v_add_f64_e32 v[178:179], v[18:19], v[38:39]
	v_add_f64_e32 v[96:97], v[22:23], v[42:43]
	v_add_f64_e64 v[114:115], v[30:31], -v[26:27]
	s_mov_b32 s18, 0x7c9e640b
	s_mov_b32 s19, 0xbfeca52d
	v_add_f64_e32 v[92:93], v[28:29], v[24:25]
	s_mov_b32 s16, 0x2b2883cd
	s_mov_b32 s17, 0x3fdc86fa
	v_add_f64_e64 v[112:113], v[28:29], -v[24:25]
	v_add_f64_e32 v[108:109], v[30:31], v[26:27]
	v_add_f64_e64 v[124:125], v[34:35], -v[54:55]
	s_mov_b32 s22, 0xeb564b22
	s_mov_b32 s23, 0xbfefdd0d
	v_add_f64_e32 v[104:105], v[32:33], v[52:53]
	s_mov_b32 s20, 0x3259b75e
	s_mov_b32 s21, 0x3fb79ee6
	v_add_f64_e64 v[126:127], v[32:33], -v[52:53]
	v_add_f64_e32 v[120:121], v[34:35], v[54:55]
	v_add_f64_e64 v[136:137], v[58:59], -v[82:83]
	s_mov_b32 s26, 0x923c349f
	s_mov_b32 s27, 0xbfeec746
	v_add_f64_e32 v[116:117], v[80:81], v[56:57]
	s_mov_b32 s24, 0xc61f0d01
	s_mov_b32 s25, 0xbfd183b1
	s_wait_alu 0xfffe
	v_mul_f64_e32 v[0:1], s[0:1], v[168:169]
	v_add_f64_e64 v[142:143], v[56:57], -v[80:81]
	v_add_f64_e32 v[132:133], v[82:83], v[58:59]
	v_add_f64_e64 v[162:163], v[62:63], -v[74:75]
	v_mul_f64_e32 v[249:250], s[10:11], v[102:103]
	v_mul_f64_e32 v[4:5], s[10:11], v[100:101]
	s_mov_b32 s52, 0x6c9a05f6
	s_mov_b32 s53, 0xbfe9895b
	v_add_f64_e32 v[128:129], v[72:73], v[60:61]
	s_mov_b32 s28, 0x6ed5f1bb
	s_mov_b32 s29, 0xbfe348c8
	v_add_f64_e64 v[156:157], v[60:61], -v[72:73]
	v_add_f64_e32 v[144:145], v[74:75], v[62:63]
	v_add_f64_e64 v[172:173], v[50:51], -v[78:79]
	s_mov_b32 s36, 0x4363dd80
	s_mov_b32 s37, 0x3fe0d888
	;; [unrolled: 1-line block ×4, first 2 shown]
	v_add_f64_e32 v[138:139], v[48:49], v[76:77]
	s_mov_b32 s30, 0x910ea3b9
	s_mov_b32 s31, 0xbfeb34fa
	v_add_f64_e64 v[170:171], v[48:49], -v[76:77]
	v_add_f64_e32 v[152:153], v[50:51], v[78:79]
	v_add_f64_e64 v[176:177], v[66:67], -v[70:71]
	s_mov_b32 s38, 0xacd6c6b4
	s_mov_b32 s39, 0xbfc7851a
	v_add_f64_e32 v[148:149], v[64:65], v[68:69]
	s_mov_b32 s34, 0x7faef3
	s_mov_b32 s35, 0xbfef7484
	v_add_f64_e64 v[174:175], v[64:65], -v[68:69]
	v_add_f64_e32 v[158:159], v[66:67], v[70:71]
	v_mul_f64_e32 v[194:195], s[10:11], v[168:169]
	v_mul_f64_e32 v[196:197], s[10:11], v[182:183]
	s_mov_b32 s51, 0x3feec746
	s_mov_b32 s50, s26
	;; [unrolled: 1-line block ×5, first 2 shown]
	scratch_store_b64 off, v[0:1], off offset:256 ; 8-byte Folded Spill
	v_fma_f64 v[0:1], v[164:165], s[6:7], v[0:1]
	v_mul_f64_e32 v[211:212], s[36:37], v[142:143]
	s_mov_b32 s42, s0
	v_fma_f64 v[2:3], v[84:85], s[8:9], v[249:250]
	scratch_store_b64 off, v[4:5], off offset:64 ; 8-byte Folded Spill
	v_fma_f64 v[4:5], v[96:97], s[8:9], -v[4:5]
	v_mul_f64_e32 v[198:199], s[18:19], v[168:169]
	v_mul_f64_e32 v[200:201], s[18:19], v[182:183]
	;; [unrolled: 1-line block ×3, first 2 shown]
	s_mov_b32 s47, 0x3fc7851a
	v_mul_f64_e32 v[221:222], s[50:51], v[156:157]
	s_mov_b32 s46, s38
	v_mul_f64_e32 v[239:240], s[50:51], v[126:127]
	v_mul_f64_e32 v[223:224], s[46:47], v[112:113]
	s_mov_b32 s49, 0x3fe58eea
	s_mov_b32 s48, s10
	v_mul_f64_e32 v[94:95], s[0:1], v[162:163]
	v_mul_f64_e32 v[235:236], s[48:49], v[136:137]
	;; [unrolled: 1-line block ×20, first 2 shown]
	s_mov_b32 s55, 0x3fe9895b
	s_mov_b32 s54, s52
	v_add_f64_e32 v[0:1], v[12:13], v[0:1]
	v_mul_f64_e32 v[86:87], s[54:55], v[172:173]
	v_mul_f64_e32 v[122:123], s[54:55], v[170:171]
	;; [unrolled: 1-line block ×12, first 2 shown]
	s_mov_b32 s57, 0x3fefdd0d
	s_mov_b32 s56, s22
	v_mul_f64_e32 v[140:141], s[0:1], v[172:173]
	v_mul_f64_e32 v[186:187], s[56:57], v[162:163]
	;; [unrolled: 1-line block ×6, first 2 shown]
	v_add_f64_e32 v[0:1], v[2:3], v[0:1]
	v_mul_f64_e32 v[2:3], s[0:1], v[182:183]
	scratch_store_b64 off, v[2:3], off offset:272 ; 8-byte Folded Spill
	v_fma_f64 v[2:3], v[178:179], s[6:7], -v[2:3]
	s_delay_alu instid0(VALU_DEP_1) | instskip(NEXT) | instid1(VALU_DEP_1)
	v_add_f64_e32 v[2:3], v[14:15], v[2:3]
	v_add_f64_e32 v[2:3], v[4:5], v[2:3]
	v_mul_f64_e32 v[4:5], s[18:19], v[114:115]
	scratch_store_b64 off, v[4:5], off offset:48 ; 8-byte Folded Spill
	v_fma_f64 v[4:5], v[92:93], s[16:17], v[4:5]
	s_delay_alu instid0(VALU_DEP_1) | instskip(SKIP_3) | instid1(VALU_DEP_1)
	v_add_f64_e32 v[0:1], v[4:5], v[0:1]
	v_mul_f64_e32 v[4:5], s[18:19], v[112:113]
	scratch_store_b64 off, v[4:5], off offset:96 ; 8-byte Folded Spill
	v_fma_f64 v[4:5], v[108:109], s[16:17], -v[4:5]
	v_add_f64_e32 v[2:3], v[4:5], v[2:3]
	v_mul_f64_e32 v[4:5], s[22:23], v[124:125]
	scratch_store_b64 off, v[4:5], off offset:80 ; 8-byte Folded Spill
	v_fma_f64 v[4:5], v[104:105], s[20:21], v[4:5]
	s_delay_alu instid0(VALU_DEP_1) | instskip(SKIP_3) | instid1(VALU_DEP_1)
	v_add_f64_e32 v[0:1], v[4:5], v[0:1]
	v_mul_f64_e32 v[4:5], s[22:23], v[126:127]
	scratch_store_b64 off, v[4:5], off offset:128 ; 8-byte Folded Spill
	v_fma_f64 v[4:5], v[120:121], s[20:21], -v[4:5]
	v_add_f64_e32 v[2:3], v[4:5], v[2:3]
	v_mul_f64_e32 v[4:5], s[26:27], v[136:137]
	scratch_store_b64 off, v[4:5], off offset:112 ; 8-byte Folded Spill
	v_fma_f64 v[4:5], v[116:117], s[24:25], v[4:5]
	s_delay_alu instid0(VALU_DEP_1) | instskip(SKIP_3) | instid1(VALU_DEP_1)
	v_add_f64_e32 v[0:1], v[4:5], v[0:1]
	v_mul_f64_e32 v[4:5], s[26:27], v[142:143]
	scratch_store_b64 off, v[4:5], off offset:160 ; 8-byte Folded Spill
	v_fma_f64 v[4:5], v[132:133], s[24:25], -v[4:5]
	v_add_f64_e32 v[2:3], v[4:5], v[2:3]
	v_mul_f64_e32 v[4:5], s[52:53], v[162:163]
	scratch_store_b64 off, v[4:5], off offset:144 ; 8-byte Folded Spill
	v_fma_f64 v[4:5], v[128:129], s[28:29], v[4:5]
	s_delay_alu instid0(VALU_DEP_1) | instskip(SKIP_3) | instid1(VALU_DEP_1)
	v_add_f64_e32 v[0:1], v[4:5], v[0:1]
	v_mul_f64_e32 v[4:5], s[52:53], v[156:157]
	scratch_store_b64 off, v[4:5], off offset:192 ; 8-byte Folded Spill
	v_fma_f64 v[4:5], v[144:145], s[28:29], -v[4:5]
	v_add_f64_e32 v[2:3], v[4:5], v[2:3]
	v_mul_f64_e32 v[4:5], s[40:41], v[172:173]
	scratch_store_b64 off, v[4:5], off offset:176 ; 8-byte Folded Spill
	v_fma_f64 v[4:5], v[138:139], s[30:31], v[4:5]
	s_delay_alu instid0(VALU_DEP_1) | instskip(SKIP_3) | instid1(VALU_DEP_1)
	v_add_f64_e32 v[0:1], v[4:5], v[0:1]
	v_mul_f64_e32 v[4:5], s[40:41], v[170:171]
	scratch_store_b64 off, v[4:5], off offset:224 ; 8-byte Folded Spill
	v_fma_f64 v[4:5], v[152:153], s[30:31], -v[4:5]
	v_add_f64_e32 v[2:3], v[4:5], v[2:3]
	v_mul_f64_e32 v[4:5], s[38:39], v[176:177]
	scratch_store_b64 off, v[4:5], off offset:208 ; 8-byte Folded Spill
	v_fma_f64 v[4:5], v[148:149], s[34:35], v[4:5]
	s_delay_alu instid0(VALU_DEP_1)
	v_add_f64_e32 v[44:45], v[4:5], v[0:1]
	v_mul_f64_e32 v[0:1], s[38:39], v[174:175]
	v_mul_f64_e32 v[4:5], s[22:23], v[100:101]
	s_clause 0x1
	scratch_store_b64 off, v[0:1], off offset:240
	scratch_store_b64 off, v[4:5], off offset:336
	v_fma_f64 v[0:1], v[158:159], s[34:35], -v[0:1]
	v_fma_f64 v[4:5], v[96:97], s[20:21], -v[4:5]
	s_delay_alu instid0(VALU_DEP_2) | instskip(SKIP_2) | instid1(VALU_DEP_2)
	v_add_f64_e32 v[46:47], v[0:1], v[2:3]
	v_fma_f64 v[0:1], v[164:165], s[8:9], v[194:195]
	v_mul_f64_e32 v[2:3], s[22:23], v[102:103]
	v_add_f64_e32 v[0:1], v[12:13], v[0:1]
	scratch_store_b64 off, v[2:3], off offset:288 ; 8-byte Folded Spill
	v_fma_f64 v[2:3], v[84:85], s[20:21], v[2:3]
	s_delay_alu instid0(VALU_DEP_1) | instskip(SKIP_1) | instid1(VALU_DEP_1)
	v_add_f64_e32 v[0:1], v[2:3], v[0:1]
	v_fma_f64 v[2:3], v[178:179], s[8:9], -v[196:197]
	v_add_f64_e32 v[2:3], v[14:15], v[2:3]
	s_delay_alu instid0(VALU_DEP_1) | instskip(SKIP_3) | instid1(VALU_DEP_1)
	v_add_f64_e32 v[2:3], v[4:5], v[2:3]
	v_mul_f64_e32 v[4:5], s[52:53], v[114:115]
	scratch_store_b64 off, v[4:5], off offset:304 ; 8-byte Folded Spill
	v_fma_f64 v[4:5], v[92:93], s[28:29], v[4:5]
	v_add_f64_e32 v[0:1], v[4:5], v[0:1]
	v_mul_f64_e32 v[4:5], s[52:53], v[112:113]
	scratch_store_b64 off, v[4:5], off offset:352 ; 8-byte Folded Spill
	v_fma_f64 v[4:5], v[108:109], s[28:29], -v[4:5]
	s_delay_alu instid0(VALU_DEP_1) | instskip(SKIP_3) | instid1(VALU_DEP_1)
	v_add_f64_e32 v[2:3], v[4:5], v[2:3]
	v_mul_f64_e32 v[4:5], s[38:39], v[124:125]
	scratch_store_b64 off, v[4:5], off offset:320 ; 8-byte Folded Spill
	v_fma_f64 v[4:5], v[104:105], s[34:35], v[4:5]
	v_add_f64_e32 v[0:1], v[4:5], v[0:1]
	v_mul_f64_e32 v[4:5], s[38:39], v[126:127]
	scratch_store_b64 off, v[4:5], off offset:400 ; 8-byte Folded Spill
	v_fma_f64 v[4:5], v[120:121], s[34:35], -v[4:5]
	s_delay_alu instid0(VALU_DEP_1) | instskip(SKIP_3) | instid1(VALU_DEP_1)
	v_add_f64_e32 v[2:3], v[4:5], v[2:3]
	v_mul_f64_e32 v[4:5], s[36:37], v[136:137]
	scratch_store_b64 off, v[4:5], off offset:368 ; 8-byte Folded Spill
	v_fma_f64 v[4:5], v[116:117], s[30:31], v[4:5]
	v_add_f64_e32 v[0:1], v[4:5], v[0:1]
	v_fma_f64 v[4:5], v[132:133], s[30:31], -v[211:212]
	s_delay_alu instid0(VALU_DEP_1) | instskip(SKIP_3) | instid1(VALU_DEP_1)
	v_add_f64_e32 v[2:3], v[4:5], v[2:3]
	v_mul_f64_e32 v[4:5], s[50:51], v[162:163]
	scratch_store_b64 off, v[4:5], off offset:416 ; 8-byte Folded Spill
	v_fma_f64 v[4:5], v[128:129], s[24:25], v[4:5]
	v_add_f64_e32 v[0:1], v[4:5], v[0:1]
	;; [unrolled: 7-line block ×4, first 2 shown]
	v_fma_f64 v[0:1], v[158:159], s[6:7], -v[219:220]
	v_fma_f64 v[4:5], v[96:97], s[28:29], -v[215:216]
	s_delay_alu instid0(VALU_DEP_2) | instskip(SKIP_2) | instid1(VALU_DEP_2)
	v_add_f64_e32 v[243:244], v[0:1], v[2:3]
	v_fma_f64 v[0:1], v[164:165], s[16:17], v[198:199]
	v_mul_f64_e32 v[2:3], s[52:53], v[102:103]
	v_add_f64_e32 v[0:1], v[12:13], v[0:1]
	scratch_store_b64 off, v[2:3], off offset:392 ; 8-byte Folded Spill
	v_fma_f64 v[2:3], v[84:85], s[28:29], v[2:3]
	s_delay_alu instid0(VALU_DEP_1) | instskip(SKIP_1) | instid1(VALU_DEP_1)
	v_add_f64_e32 v[0:1], v[2:3], v[0:1]
	v_fma_f64 v[2:3], v[178:179], s[16:17], -v[200:201]
	v_add_f64_e32 v[2:3], v[14:15], v[2:3]
	s_delay_alu instid0(VALU_DEP_1) | instskip(SKIP_3) | instid1(VALU_DEP_1)
	v_add_f64_e32 v[2:3], v[4:5], v[2:3]
	v_mul_f64_e32 v[4:5], s[46:47], v[114:115]
	scratch_store_b64 off, v[4:5], off offset:424 ; 8-byte Folded Spill
	v_fma_f64 v[4:5], v[92:93], s[34:35], v[4:5]
	v_add_f64_e32 v[0:1], v[4:5], v[0:1]
	v_fma_f64 v[4:5], v[108:109], s[34:35], -v[223:224]
	s_delay_alu instid0(VALU_DEP_1) | instskip(SKIP_3) | instid1(VALU_DEP_1)
	v_add_f64_e32 v[2:3], v[4:5], v[2:3]
	v_mul_f64_e32 v[4:5], s[50:51], v[124:125]
	scratch_store_b64 off, v[4:5], off offset:432 ; 8-byte Folded Spill
	v_fma_f64 v[4:5], v[104:105], s[24:25], v[4:5]
	v_add_f64_e32 v[0:1], v[4:5], v[0:1]
	v_fma_f64 v[4:5], v[120:121], s[24:25], -v[239:240]
	s_delay_alu instid0(VALU_DEP_1) | instskip(SKIP_1) | instid1(VALU_DEP_1)
	v_add_f64_e32 v[2:3], v[4:5], v[2:3]
	v_fma_f64 v[4:5], v[116:117], s[8:9], v[235:236]
	v_add_f64_e32 v[0:1], v[4:5], v[0:1]
	v_fma_f64 v[4:5], v[132:133], s[8:9], -v[106:107]
	s_delay_alu instid0(VALU_DEP_1) | instskip(SKIP_1) | instid1(VALU_DEP_1)
	v_add_f64_e32 v[2:3], v[4:5], v[2:3]
	;; [unrolled: 5-line block ×4, first 2 shown]
	v_fma_f64 v[4:5], v[148:149], s[30:31], v[231:232]
	v_add_f64_e32 v[8:9], v[4:5], v[0:1]
	v_mul_f64_e32 v[4:5], s[40:41], v[174:175]
	s_delay_alu instid0(VALU_DEP_1) | instskip(NEXT) | instid1(VALU_DEP_1)
	v_fma_f64 v[0:1], v[158:159], s[30:31], -v[4:5]
	v_add_f64_e32 v[10:11], v[0:1], v[2:3]
	v_fma_f64 v[0:1], v[164:165], s[20:21], v[202:203]
	v_fma_f64 v[2:3], v[84:85], s[34:35], v[217:218]
	scratch_store_b128 off, v[8:11], off    ; 16-byte Folded Spill
	v_add_f64_e32 v[0:1], v[12:13], v[0:1]
	v_fma_f64 v[8:9], v[96:97], s[34:35], -v[233:234]
	s_delay_alu instid0(VALU_DEP_2) | instskip(SKIP_1) | instid1(VALU_DEP_1)
	v_add_f64_e32 v[0:1], v[2:3], v[0:1]
	v_fma_f64 v[2:3], v[178:179], s[20:21], -v[204:205]
	v_add_f64_e32 v[2:3], v[14:15], v[2:3]
	s_delay_alu instid0(VALU_DEP_1) | instskip(SKIP_1) | instid1(VALU_DEP_1)
	v_add_f64_e32 v[2:3], v[8:9], v[2:3]
	v_fma_f64 v[8:9], v[92:93], s[24:25], v[225:226]
	v_add_f64_e32 v[8:9], v[8:9], v[0:1]
	v_mul_f64_e32 v[0:1], s[50:51], v[112:113]
	s_delay_alu instid0(VALU_DEP_1) | instskip(NEXT) | instid1(VALU_DEP_1)
	v_fma_f64 v[10:11], v[108:109], s[24:25], -v[0:1]
	v_add_f64_e32 v[2:3], v[10:11], v[2:3]
	v_fma_f64 v[10:11], v[104:105], s[6:7], v[229:230]
	s_delay_alu instid0(VALU_DEP_1) | instskip(SKIP_1) | instid1(VALU_DEP_1)
	v_add_f64_e32 v[8:9], v[10:11], v[8:9]
	v_fma_f64 v[10:11], v[120:121], s[6:7], -v[118:119]
	v_add_f64_e32 v[2:3], v[10:11], v[2:3]
	v_fma_f64 v[10:11], v[116:117], s[16:17], v[98:99]
	s_delay_alu instid0(VALU_DEP_1) | instskip(SKIP_1) | instid1(VALU_DEP_1)
	v_add_f64_e32 v[8:9], v[10:11], v[8:9]
	;; [unrolled: 5-line block ×5, first 2 shown]
	v_fma_f64 v[8:9], v[158:159], s[8:9], -v[110:111]
	v_add_f64_e32 v[90:91], v[8:9], v[2:3]
	v_fma_f64 v[2:3], v[164:165], s[24:25], v[206:207]
	v_fma_f64 v[8:9], v[84:85], s[30:31], v[227:228]
	scratch_store_b128 off, v[88:91], off offset:16 ; 16-byte Folded Spill
	v_add_f64_e32 v[2:3], v[12:13], v[2:3]
	s_delay_alu instid0(VALU_DEP_1) | instskip(SKIP_1) | instid1(VALU_DEP_1)
	v_add_f64_e32 v[8:9], v[8:9], v[2:3]
	v_fma_f64 v[2:3], v[178:179], s[24:25], -v[208:209]
	v_add_f64_e32 v[10:11], v[14:15], v[2:3]
	v_mul_f64_e32 v[2:3], s[36:37], v[100:101]
	s_delay_alu instid0(VALU_DEP_1) | instskip(NEXT) | instid1(VALU_DEP_1)
	v_fma_f64 v[88:89], v[96:97], s[30:31], -v[2:3]
	v_add_f64_e32 v[10:11], v[88:89], v[10:11]
	v_fma_f64 v[88:89], v[92:93], s[8:9], v[247:248]
	s_delay_alu instid0(VALU_DEP_1) | instskip(SKIP_1) | instid1(VALU_DEP_1)
	v_add_f64_e32 v[88:89], v[88:89], v[8:9]
	v_fma_f64 v[8:9], v[108:109], s[8:9], -v[134:135]
	v_add_f64_e32 v[10:11], v[8:9], v[10:11]
	v_mul_f64_e32 v[8:9], s[18:19], v[124:125]
	s_delay_alu instid0(VALU_DEP_1) | instskip(NEXT) | instid1(VALU_DEP_1)
	v_fma_f64 v[90:91], v[104:105], s[16:17], v[8:9]
	v_add_f64_e32 v[88:89], v[90:91], v[88:89]
	v_fma_f64 v[90:91], v[120:121], s[16:17], -v[180:181]
	s_delay_alu instid0(VALU_DEP_1) | instskip(SKIP_1) | instid1(VALU_DEP_1)
	v_add_f64_e32 v[10:11], v[90:91], v[10:11]
	v_fma_f64 v[90:91], v[116:117], s[34:35], v[150:151]
	v_add_f64_e32 v[88:89], v[90:91], v[88:89]
	v_fma_f64 v[90:91], v[132:133], s[34:35], -v[190:191]
	s_delay_alu instid0(VALU_DEP_1) | instskip(SKIP_1) | instid1(VALU_DEP_1)
	v_add_f64_e32 v[10:11], v[90:91], v[10:11]
	;; [unrolled: 5-line block ×4, first 2 shown]
	v_fma_f64 v[90:91], v[148:149], s[28:29], v[130:131]
	v_add_f64_e32 v[88:89], v[90:91], v[88:89]
	v_fma_f64 v[90:91], v[158:159], s[28:29], -v[166:167]
	s_delay_alu instid0(VALU_DEP_1)
	v_add_f64_e32 v[90:91], v[90:91], v[10:11]
	scratch_store_b128 off, v[88:91], off offset:32 ; 16-byte Folded Spill
	global_wb scope:SCOPE_SE
	s_wait_storecnt 0x0
	s_barrier_signal -1
	s_barrier_wait -1
	global_inv scope:SCOPE_SE
	s_and_saveexec_b32 s33, vcc_lo
	s_cbranch_execz .LBB0_7
; %bb.6:
	scratch_load_b64 v[88:89], off, off offset:400 th:TH_LOAD_LU ; 8-byte Folded Reload
	v_add_f64_e32 v[10:11], v[14:15], v[38:39]
	v_add_f64_e32 v[36:37], v[12:13], v[36:37]
	v_mul_f64_e32 v[38:39], s[16:17], v[178:179]
	s_delay_alu instid0(VALU_DEP_3) | instskip(SKIP_1) | instid1(VALU_DEP_4)
	v_add_f64_e32 v[10:11], v[42:43], v[10:11]
	v_mul_f64_e32 v[42:43], s[8:9], v[178:179]
	v_add_f64_e32 v[36:37], v[40:41], v[36:37]
	v_mul_f64_e32 v[40:41], s[16:17], v[164:165]
	;; [unrolled: 2-line block ×3, first 2 shown]
	v_add_f64_e32 v[10:11], v[30:31], v[10:11]
	v_add_f64_e32 v[42:43], v[196:197], v[42:43]
	v_mul_f64_e32 v[196:197], s[34:35], v[120:121]
	v_add_f64_e64 v[40:41], v[40:41], -v[198:199]
	v_mul_f64_e32 v[198:199], s[28:29], v[108:109]
	v_add_f64_e32 v[28:29], v[28:29], v[36:37]
	v_mul_f64_e32 v[36:37], s[20:21], v[164:165]
	v_mul_f64_e32 v[30:31], s[24:25], v[178:179]
	v_add_f64_e32 v[10:11], v[34:35], v[10:11]
	v_mul_f64_e32 v[34:35], s[20:21], v[178:179]
	v_add_f64_e32 v[28:29], v[32:33], v[28:29]
	v_add_f64_e64 v[36:37], v[36:37], -v[202:203]
	v_mul_f64_e32 v[202:203], s[24:25], v[128:129]
	v_mul_f64_e32 v[32:33], s[24:25], v[164:165]
	v_add_f64_e32 v[30:31], v[208:209], v[30:31]
	v_mul_f64_e32 v[208:209], s[28:29], v[92:93]
	v_add_f64_e32 v[10:11], v[58:59], v[10:11]
	v_add_f64_e32 v[34:35], v[204:205], v[34:35]
	v_mul_f64_e32 v[204:205], s[30:31], v[116:117]
	v_add_f64_e32 v[28:29], v[56:57], v[28:29]
	v_mul_f64_e32 v[56:57], s[52:53], v[168:169]
	v_add_f64_e64 v[32:33], v[32:33], -v[206:207]
	v_mul_f64_e32 v[206:207], s[20:21], v[84:85]
	v_add_f64_e32 v[10:11], v[62:63], v[10:11]
	v_add_f64_e32 v[28:29], v[60:61], v[28:29]
	v_fma_f64 v[62:63], v[164:165], s[28:29], v[56:57]
	v_fma_f64 v[56:57], v[164:165], s[28:29], -v[56:57]
	s_delay_alu instid0(VALU_DEP_4)
	v_add_f64_e32 v[10:11], v[50:51], v[10:11]
	v_mul_f64_e32 v[50:51], s[6:7], v[178:179]
	v_add_f64_e32 v[28:29], v[48:49], v[28:29]
	v_mul_f64_e32 v[48:49], s[8:9], v[164:165]
	v_add_f64_e32 v[62:63], v[12:13], v[62:63]
	v_add_f64_e32 v[56:57], v[12:13], v[56:57]
	;; [unrolled: 1-line block ×4, first 2 shown]
	v_mul_f64_e32 v[64:65], s[6:7], v[164:165]
	v_add_f64_e64 v[48:49], v[48:49], -v[194:195]
	v_mul_f64_e32 v[194:195], s[30:31], v[132:133]
	v_add_f64_e32 v[10:11], v[70:71], v[10:11]
	v_add_f64_e32 v[28:29], v[68:69], v[28:29]
	s_delay_alu instid0(VALU_DEP_3)
	v_add_f64_e32 v[194:195], v[211:212], v[194:195]
	s_wait_loadcnt 0x0
	v_add_f64_e32 v[196:197], v[88:89], v[196:197]
	scratch_load_b64 v[88:89], off, off offset:352 th:TH_LOAD_LU ; 8-byte Folded Reload
	v_add_f64_e32 v[10:11], v[78:79], v[10:11]
	v_add_f64_e32 v[28:29], v[76:77], v[28:29]
	;; [unrolled: 1-line block ×11, first 2 shown]
	s_delay_alu instid0(VALU_DEP_4) | instskip(NEXT) | instid1(VALU_DEP_2)
	v_add_f64_e32 v[10:11], v[82:83], v[10:11]
	v_add_f64_e32 v[28:29], v[80:81], v[28:29]
	s_delay_alu instid0(VALU_DEP_2) | instskip(SKIP_1) | instid1(VALU_DEP_3)
	v_add_f64_e32 v[10:11], v[54:55], v[10:11]
	v_mul_f64_e32 v[54:55], s[40:41], v[168:169]
	v_add_f64_e32 v[28:29], v[52:53], v[28:29]
	scratch_load_b64 v[52:53], off, off offset:272 th:TH_LOAD_LU ; 8-byte Folded Reload
	v_add_f64_e32 v[10:11], v[26:27], v[10:11]
	v_mul_f64_e32 v[26:27], s[28:29], v[178:179]
	v_fma_f64 v[60:61], v[164:165], s[30:31], v[54:55]
	v_fma_f64 v[54:55], v[164:165], s[30:31], -v[54:55]
	v_add_f64_e32 v[24:25], v[24:25], v[28:29]
	v_add_f64_e32 v[10:11], v[22:23], v[10:11]
	v_mul_f64_e32 v[22:23], s[30:31], v[178:179]
	v_fma_f64 v[28:29], v[182:183], s[54:55], v[26:27]
	v_fma_f64 v[26:27], v[182:183], s[52:53], v[26:27]
	v_add_f64_e32 v[60:61], v[12:13], v[60:61]
	v_add_f64_e32 v[20:21], v[20:21], v[24:25]
	;; [unrolled: 1-line block ×4, first 2 shown]
	v_mul_f64_e32 v[10:11], s[34:35], v[178:179]
	v_fma_f64 v[24:25], v[182:183], s[36:37], v[22:23]
	v_fma_f64 v[22:23], v[182:183], s[40:41], v[22:23]
	v_add_f64_e32 v[72:73], v[14:15], v[26:27]
	v_add_f64_e32 v[16:17], v[16:17], v[20:21]
	v_mul_f64_e32 v[26:27], s[30:31], v[108:109]
	v_add_f64_e32 v[70:71], v[14:15], v[28:29]
	v_add_f64_e32 v[28:29], v[14:15], v[42:43]
	v_mul_f64_e32 v[178:179], s[20:21], v[158:159]
	v_fma_f64 v[20:21], v[182:183], s[46:47], v[10:11]
	v_fma_f64 v[10:11], v[182:183], s[38:39], v[10:11]
	v_add_f64_e32 v[68:69], v[14:15], v[22:23]
	v_mul_f64_e32 v[22:23], s[6:7], v[96:97]
	v_add_f64_e32 v[24:25], v[14:15], v[24:25]
	v_fma_f64 v[40:41], v[112:113], s[36:37], v[26:27]
	v_fma_f64 v[26:27], v[112:113], s[40:41], v[26:27]
	v_mul_f64_e32 v[182:183], s[56:57], v[176:177]
	s_wait_loadcnt 0x1
	v_add_f64_e32 v[198:199], v[88:89], v[198:199]
	scratch_load_b64 v[88:89], off, off offset:336 th:TH_LOAD_LU ; 8-byte Folded Reload
	v_add_f64_e32 v[20:21], v[14:15], v[20:21]
	s_wait_loadcnt 0x0
	v_add_f64_e32 v[200:201], v[88:89], v[200:201]
	scratch_load_b64 v[88:89], off, off offset:416 th:TH_LOAD_LU ; 8-byte Folded Reload
	v_add_f64_e32 v[28:29], v[200:201], v[28:29]
	v_mul_f64_e32 v[200:201], s[34:35], v[104:105]
	s_delay_alu instid0(VALU_DEP_2) | instskip(SKIP_1) | instid1(VALU_DEP_2)
	v_add_f64_e32 v[28:29], v[198:199], v[28:29]
	v_mul_f64_e32 v[198:199], s[16:17], v[152:153]
	v_add_f64_e32 v[28:29], v[196:197], v[28:29]
	v_mul_f64_e32 v[196:197], s[16:17], v[138:139]
	s_delay_alu instid0(VALU_DEP_3) | instskip(NEXT) | instid1(VALU_DEP_3)
	v_add_f64_e32 v[198:199], v[213:214], v[198:199]
	v_add_f64_e32 v[28:29], v[194:195], v[28:29]
	v_mul_f64_e32 v[194:195], s[6:7], v[158:159]
	s_delay_alu instid0(VALU_DEP_1)
	v_add_f64_e32 v[194:195], v[219:220], v[194:195]
	s_wait_loadcnt 0x0
	v_add_f64_e64 v[202:203], v[202:203], -v[88:89]
	scratch_load_b64 v[88:89], off, off offset:368 th:TH_LOAD_LU ; 8-byte Folded Reload
	s_wait_loadcnt 0x0
	v_add_f64_e64 v[204:205], v[204:205], -v[88:89]
	s_clause 0x1
	scratch_load_b64 v[88:89], off, off offset:288 th:TH_LOAD_LU
	scratch_load_b64 v[66:67], off, off offset:256 th:TH_LOAD_LU
	v_add_f64_e32 v[50:51], v[52:53], v[50:51]
	v_mul_f64_e32 v[52:53], s[38:39], v[168:169]
	s_delay_alu instid0(VALU_DEP_1) | instskip(SKIP_1) | instid1(VALU_DEP_2)
	v_fma_f64 v[58:59], v[164:165], s[34:35], v[52:53]
	v_fma_f64 v[52:53], v[164:165], s[34:35], -v[52:53]
	v_add_f64_e32 v[58:59], v[12:13], v[58:59]
	s_delay_alu instid0(VALU_DEP_2)
	v_add_f64_e32 v[52:53], v[12:13], v[52:53]
	s_wait_loadcnt 0x1
	v_add_f64_e64 v[206:207], v[206:207], -v[88:89]
	s_wait_loadcnt 0x0
	v_add_f64_e64 v[64:65], v[64:65], -v[66:67]
	v_add_f64_e32 v[66:67], v[14:15], v[10:11]
	v_fma_f64 v[10:11], v[100:101], s[0:1], v[22:23]
	v_add_f64_e32 v[14:15], v[14:15], v[50:51]
	v_fma_f64 v[22:23], v[100:101], s[42:43], v[22:23]
	scratch_load_b64 v[88:89], off, off offset:304 th:TH_LOAD_LU ; 8-byte Folded Reload
	v_add_f64_e32 v[30:31], v[206:207], v[30:31]
	v_add_f64_e32 v[64:65], v[12:13], v[64:65]
	;; [unrolled: 1-line block ×3, first 2 shown]
	v_mul_f64_e32 v[20:21], s[42:43], v[102:103]
	v_add_f64_e32 v[22:23], v[22:23], v[66:67]
	s_delay_alu instid0(VALU_DEP_3) | instskip(NEXT) | instid1(VALU_DEP_3)
	v_add_f64_e32 v[10:11], v[40:41], v[10:11]
	v_fma_f64 v[12:13], v[84:85], s[6:7], v[20:21]
	v_mul_f64_e32 v[40:41], s[40:41], v[114:115]
	v_fma_f64 v[20:21], v[84:85], s[6:7], -v[20:21]
	v_add_f64_e32 v[22:23], v[26:27], v[22:23]
	s_delay_alu instid0(VALU_DEP_4) | instskip(NEXT) | instid1(VALU_DEP_4)
	v_add_f64_e32 v[12:13], v[12:13], v[58:59]
	v_fma_f64 v[42:43], v[92:93], s[30:31], v[40:41]
	s_delay_alu instid0(VALU_DEP_4) | instskip(SKIP_2) | instid1(VALU_DEP_4)
	v_add_f64_e32 v[20:21], v[20:21], v[52:53]
	v_fma_f64 v[26:27], v[92:93], s[30:31], -v[40:41]
	v_fma_f64 v[40:41], v[148:149], s[20:21], -v[182:183]
	v_add_f64_e32 v[12:13], v[42:43], v[12:13]
	v_mul_f64_e32 v[42:43], s[8:9], v[120:121]
	s_delay_alu instid0(VALU_DEP_4) | instskip(NEXT) | instid1(VALU_DEP_2)
	v_add_f64_e32 v[20:21], v[26:27], v[20:21]
	v_fma_f64 v[48:49], v[126:127], s[10:11], v[42:43]
	v_fma_f64 v[26:27], v[126:127], s[48:49], v[42:43]
	v_mul_f64_e32 v[42:43], s[44:45], v[102:103]
	s_delay_alu instid0(VALU_DEP_3) | instskip(SKIP_1) | instid1(VALU_DEP_4)
	v_add_f64_e32 v[10:11], v[48:49], v[10:11]
	v_mul_f64_e32 v[48:49], s[48:49], v[124:125]
	v_add_f64_e32 v[22:23], v[26:27], v[22:23]
	s_delay_alu instid0(VALU_DEP_2) | instskip(SKIP_2) | instid1(VALU_DEP_3)
	v_fma_f64 v[50:51], v[104:105], s[8:9], v[48:49]
	v_fma_f64 v[26:27], v[104:105], s[8:9], -v[48:49]
	v_mul_f64_e32 v[48:49], s[20:21], v[108:109]
	v_add_f64_e32 v[12:13], v[50:51], v[12:13]
	v_mul_f64_e32 v[50:51], s[28:29], v[132:133]
	s_delay_alu instid0(VALU_DEP_4)
	v_add_f64_e32 v[20:21], v[26:27], v[20:21]
	s_wait_loadcnt 0x0
	v_add_f64_e64 v[208:209], v[208:209], -v[88:89]
	scratch_load_b64 v[88:89], off, off offset:320 th:TH_LOAD_LU ; 8-byte Folded Reload
	v_fma_f64 v[58:59], v[142:143], s[54:55], v[50:51]
	v_fma_f64 v[26:27], v[142:143], s[52:53], v[50:51]
	v_fma_f64 v[50:51], v[112:113], s[56:57], v[48:49]
	v_fma_f64 v[48:49], v[112:113], s[22:23], v[48:49]
	v_add_f64_e32 v[30:31], v[208:209], v[30:31]
	v_add_f64_e32 v[10:11], v[58:59], v[10:11]
	v_mul_f64_e32 v[58:59], s[52:53], v[136:137]
	v_add_f64_e32 v[22:23], v[26:27], v[22:23]
	s_delay_alu instid0(VALU_DEP_2) | instskip(SKIP_1) | instid1(VALU_DEP_2)
	v_fma_f64 v[78:79], v[116:117], s[28:29], v[58:59]
	v_fma_f64 v[26:27], v[116:117], s[28:29], -v[58:59]
	v_add_f64_e32 v[12:13], v[78:79], v[12:13]
	v_mul_f64_e32 v[78:79], s[16:17], v[144:145]
	s_delay_alu instid0(VALU_DEP_3) | instskip(NEXT) | instid1(VALU_DEP_2)
	v_add_f64_e32 v[20:21], v[26:27], v[20:21]
	v_fma_f64 v[80:81], v[156:157], s[18:19], v[78:79]
	v_fma_f64 v[26:27], v[156:157], s[44:45], v[78:79]
	s_delay_alu instid0(VALU_DEP_2) | instskip(SKIP_1) | instid1(VALU_DEP_3)
	v_add_f64_e32 v[10:11], v[80:81], v[10:11]
	v_mul_f64_e32 v[80:81], s[44:45], v[162:163]
	v_add_f64_e32 v[22:23], v[26:27], v[22:23]
	s_delay_alu instid0(VALU_DEP_2) | instskip(SKIP_1) | instid1(VALU_DEP_2)
	v_fma_f64 v[82:83], v[128:129], s[16:17], v[80:81]
	v_fma_f64 v[26:27], v[128:129], s[16:17], -v[80:81]
	v_add_f64_e32 v[12:13], v[82:83], v[12:13]
	v_mul_f64_e32 v[82:83], s[24:25], v[152:153]
	s_delay_alu instid0(VALU_DEP_3)
	v_add_f64_e32 v[20:21], v[26:27], v[20:21]
	s_wait_loadcnt 0x0
	v_add_f64_e64 v[200:201], v[200:201], -v[88:89]
	scratch_load_b64 v[88:89], off, off offset:384 th:TH_LOAD_LU ; 8-byte Folded Reload
	v_fma_f64 v[164:165], v[170:171], s[50:51], v[82:83]
	v_fma_f64 v[26:27], v[170:171], s[26:27], v[82:83]
	v_add_f64_e32 v[30:31], v[200:201], v[30:31]
	v_mul_f64_e32 v[200:201], s[28:29], v[84:85]
	s_delay_alu instid0(VALU_DEP_4) | instskip(SKIP_3) | instid1(VALU_DEP_3)
	v_add_f64_e32 v[10:11], v[164:165], v[10:11]
	v_mul_f64_e32 v[164:165], s[26:27], v[172:173]
	v_add_f64_e32 v[22:23], v[26:27], v[22:23]
	v_add_f64_e32 v[30:31], v[204:205], v[30:31]
	v_fma_f64 v[26:27], v[138:139], s[24:25], -v[164:165]
	v_fma_f64 v[168:169], v[138:139], s[24:25], v[164:165]
	s_delay_alu instid0(VALU_DEP_3) | instskip(SKIP_1) | instid1(VALU_DEP_4)
	v_add_f64_e32 v[30:31], v[202:203], v[30:31]
	v_mul_f64_e32 v[202:203], s[34:35], v[92:93]
	v_add_f64_e32 v[20:21], v[26:27], v[20:21]
	v_fma_f64 v[26:27], v[174:175], s[56:57], v[178:179]
	v_add_f64_e32 v[168:169], v[168:169], v[12:13]
	v_fma_f64 v[12:13], v[174:175], s[22:23], v[178:179]
	v_mul_f64_e32 v[178:179], s[24:25], v[158:159]
	v_add_f64_e32 v[20:21], v[40:41], v[20:21]
	v_mul_f64_e32 v[40:41], s[16:17], v[96:97]
	v_add_f64_e32 v[22:23], v[26:27], v[22:23]
	v_add_f64_e32 v[12:13], v[12:13], v[10:11]
	v_fma_f64 v[10:11], v[148:149], s[20:21], v[182:183]
	v_mul_f64_e32 v[182:183], s[26:27], v[176:177]
	v_fma_f64 v[26:27], v[100:101], s[18:19], v[40:41]
	v_fma_f64 v[40:41], v[100:101], s[44:45], v[40:41]
	s_delay_alu instid0(VALU_DEP_4) | instskip(NEXT) | instid1(VALU_DEP_3)
	v_add_f64_e32 v[10:11], v[10:11], v[168:169]
	v_add_f64_e32 v[24:25], v[26:27], v[24:25]
	v_fma_f64 v[26:27], v[84:85], s[16:17], v[42:43]
	s_delay_alu instid0(VALU_DEP_4)
	v_add_f64_e32 v[40:41], v[40:41], v[68:69]
	v_fma_f64 v[42:43], v[84:85], s[16:17], -v[42:43]
	v_mul_f64_e32 v[68:69], s[16:17], v[92:93]
	v_add_f64_e32 v[24:25], v[50:51], v[24:25]
	v_mul_f64_e32 v[50:51], s[22:23], v[114:115]
	v_add_f64_e32 v[26:27], v[26:27], v[60:61]
	v_add_f64_e32 v[42:43], v[42:43], v[54:55]
	;; [unrolled: 1-line block ×3, first 2 shown]
	s_delay_alu instid0(VALU_DEP_4)
	v_fma_f64 v[52:53], v[92:93], s[20:21], v[50:51]
	v_fma_f64 v[48:49], v[92:93], s[20:21], -v[50:51]
	v_fma_f64 v[50:51], v[148:149], s[24:25], -v[182:183]
	s_wait_loadcnt 0x0
	v_add_f64_e64 v[196:197], v[196:197], -v[88:89]
	scratch_load_b64 v[88:89], off, off offset:408 th:TH_LOAD_LU ; 8-byte Folded Reload
	v_add_f64_e32 v[26:27], v[52:53], v[26:27]
	v_mul_f64_e32 v[52:53], s[28:29], v[120:121]
	v_add_f64_e32 v[42:43], v[48:49], v[42:43]
	v_add_f64_e32 v[196:197], v[196:197], v[30:31]
	s_delay_alu instid0(VALU_DEP_3) | instskip(SKIP_1) | instid1(VALU_DEP_2)
	v_fma_f64 v[58:59], v[126:127], s[52:53], v[52:53]
	v_fma_f64 v[48:49], v[126:127], s[54:55], v[52:53]
	v_add_f64_e32 v[24:25], v[58:59], v[24:25]
	v_mul_f64_e32 v[58:59], s[54:55], v[124:125]
	s_delay_alu instid0(VALU_DEP_3) | instskip(NEXT) | instid1(VALU_DEP_2)
	v_add_f64_e32 v[40:41], v[48:49], v[40:41]
	v_fma_f64 v[60:61], v[104:105], s[28:29], v[58:59]
	v_fma_f64 v[48:49], v[104:105], s[28:29], -v[58:59]
	s_delay_alu instid0(VALU_DEP_2) | instskip(SKIP_1) | instid1(VALU_DEP_3)
	v_add_f64_e32 v[26:27], v[60:61], v[26:27]
	v_mul_f64_e32 v[60:61], s[6:7], v[132:133]
	v_add_f64_e32 v[42:43], v[48:49], v[42:43]
	s_delay_alu instid0(VALU_DEP_2) | instskip(SKIP_1) | instid1(VALU_DEP_2)
	v_fma_f64 v[66:67], v[142:143], s[42:43], v[60:61]
	v_fma_f64 v[48:49], v[142:143], s[0:1], v[60:61]
	v_add_f64_e32 v[24:25], v[66:67], v[24:25]
	v_mul_f64_e32 v[66:67], s[0:1], v[136:137]
	s_delay_alu instid0(VALU_DEP_3) | instskip(NEXT) | instid1(VALU_DEP_2)
	v_add_f64_e32 v[40:41], v[48:49], v[40:41]
	v_fma_f64 v[78:79], v[116:117], s[6:7], v[66:67]
	v_fma_f64 v[48:49], v[116:117], s[6:7], -v[66:67]
	scratch_load_b64 v[66:67], off, off offset:112 th:TH_LOAD_LU ; 8-byte Folded Reload
	v_add_f64_e32 v[26:27], v[78:79], v[26:27]
	v_mul_f64_e32 v[78:79], s[34:35], v[144:145]
	v_add_f64_e32 v[42:43], v[48:49], v[42:43]
	s_delay_alu instid0(VALU_DEP_2) | instskip(SKIP_1) | instid1(VALU_DEP_2)
	v_fma_f64 v[80:81], v[156:157], s[46:47], v[78:79]
	v_fma_f64 v[48:49], v[156:157], s[38:39], v[78:79]
	v_add_f64_e32 v[24:25], v[80:81], v[24:25]
	v_mul_f64_e32 v[80:81], s[38:39], v[162:163]
	s_delay_alu instid0(VALU_DEP_3) | instskip(NEXT) | instid1(VALU_DEP_2)
	v_add_f64_e32 v[40:41], v[48:49], v[40:41]
	v_fma_f64 v[82:83], v[128:129], s[34:35], v[80:81]
	v_fma_f64 v[48:49], v[128:129], s[34:35], -v[80:81]
	s_delay_alu instid0(VALU_DEP_2) | instskip(SKIP_1) | instid1(VALU_DEP_3)
	v_add_f64_e32 v[26:27], v[82:83], v[26:27]
	v_mul_f64_e32 v[82:83], s[8:9], v[152:153]
	v_add_f64_e32 v[42:43], v[48:49], v[42:43]
	s_delay_alu instid0(VALU_DEP_2) | instskip(SKIP_1) | instid1(VALU_DEP_2)
	v_fma_f64 v[164:165], v[170:171], s[10:11], v[82:83]
	v_fma_f64 v[48:49], v[170:171], s[48:49], v[82:83]
	v_add_f64_e32 v[24:25], v[164:165], v[24:25]
	v_mul_f64_e32 v[164:165], s[48:49], v[172:173]
	s_delay_alu instid0(VALU_DEP_3) | instskip(NEXT) | instid1(VALU_DEP_2)
	v_add_f64_e32 v[40:41], v[48:49], v[40:41]
	v_fma_f64 v[168:169], v[138:139], s[8:9], v[164:165]
	v_fma_f64 v[48:49], v[138:139], s[8:9], -v[164:165]
	s_delay_alu instid0(VALU_DEP_2) | instskip(SKIP_1) | instid1(VALU_DEP_3)
	v_add_f64_e32 v[168:169], v[168:169], v[26:27]
	v_fma_f64 v[26:27], v[174:175], s[50:51], v[178:179]
	v_add_f64_e32 v[48:49], v[48:49], v[42:43]
	v_fma_f64 v[42:43], v[174:175], s[26:27], v[178:179]
	s_delay_alu instid0(VALU_DEP_3) | instskip(SKIP_1) | instid1(VALU_DEP_3)
	v_add_f64_e32 v[26:27], v[26:27], v[24:25]
	v_fma_f64 v[24:25], v[148:149], s[24:25], v[182:183]
	v_add_f64_e32 v[42:43], v[42:43], v[40:41]
	v_add_f64_e32 v[40:41], v[50:51], v[48:49]
	s_delay_alu instid0(VALU_DEP_3) | instskip(SKIP_1) | instid1(VALU_DEP_1)
	v_add_f64_e32 v[24:25], v[24:25], v[168:169]
	v_mul_f64_e32 v[168:169], s[24:25], v[144:145]
	v_add_f64_e32 v[168:169], v[221:222], v[168:169]
	s_delay_alu instid0(VALU_DEP_1) | instskip(SKIP_1) | instid1(VALU_DEP_2)
	v_add_f64_e32 v[28:29], v[168:169], v[28:29]
	v_mul_f64_e32 v[168:169], s[6:7], v[148:149]
	v_add_f64_e32 v[28:29], v[198:199], v[28:29]
	s_wait_loadcnt 0x1
	s_delay_alu instid0(VALU_DEP_2)
	v_add_f64_e64 v[168:169], v[168:169], -v[88:89]
	scratch_load_b64 v[88:89], off, off offset:392 th:TH_LOAD_LU ; 8-byte Folded Reload
	v_mul_f64_e32 v[198:199], s[6:7], v[128:129]
	v_add_f64_e32 v[30:31], v[194:195], v[28:29]
	v_add_f64_e32 v[28:29], v[168:169], v[196:197]
	v_mul_f64_e32 v[168:169], s[6:7], v[144:145]
	v_mul_f64_e32 v[196:197], s[28:29], v[96:97]
	;; [unrolled: 1-line block ×3, first 2 shown]
	v_add_f64_e64 v[94:95], v[198:199], -v[94:95]
	v_mul_f64_e32 v[198:199], s[8:9], v[116:117]
	v_add_f64_e32 v[160:161], v[160:161], v[168:169]
	v_mul_f64_e32 v[168:169], s[8:9], v[132:133]
	v_add_f64_e32 v[196:197], v[215:216], v[196:197]
	v_add_f64_e32 v[194:195], v[223:224], v[194:195]
	v_add_f64_e64 v[198:199], v[198:199], -v[235:236]
	s_delay_alu instid0(VALU_DEP_4) | instskip(SKIP_3) | instid1(VALU_DEP_3)
	v_add_f64_e32 v[106:107], v[106:107], v[168:169]
	v_mul_f64_e32 v[168:169], s[24:25], v[120:121]
	v_add_f64_e32 v[36:37], v[196:197], v[36:37]
	v_mul_f64_e32 v[196:197], s[24:25], v[104:105]
	v_add_f64_e32 v[168:169], v[239:240], v[168:169]
	s_delay_alu instid0(VALU_DEP_3) | instskip(SKIP_1) | instid1(VALU_DEP_2)
	v_add_f64_e32 v[36:37], v[194:195], v[36:37]
	v_mul_f64_e32 v[194:195], s[20:21], v[152:153]
	v_add_f64_e32 v[36:37], v[168:169], v[36:37]
	v_mul_f64_e32 v[168:169], s[20:21], v[138:139]
	s_delay_alu instid0(VALU_DEP_3) | instskip(NEXT) | instid1(VALU_DEP_3)
	v_add_f64_e32 v[6:7], v[6:7], v[194:195]
	v_add_f64_e32 v[36:37], v[106:107], v[36:37]
	s_delay_alu instid0(VALU_DEP_3) | instskip(SKIP_1) | instid1(VALU_DEP_3)
	v_add_f64_e64 v[168:169], v[168:169], -v[237:238]
	v_mul_f64_e32 v[106:107], s[30:31], v[158:159]
	v_add_f64_e32 v[36:37], v[160:161], v[36:37]
	s_delay_alu instid0(VALU_DEP_2) | instskip(SKIP_1) | instid1(VALU_DEP_3)
	v_add_f64_e32 v[4:5], v[4:5], v[106:107]
	v_mul_f64_e32 v[106:107], s[24:25], v[108:109]
	v_add_f64_e32 v[6:7], v[6:7], v[36:37]
	s_delay_alu instid0(VALU_DEP_2)
	v_add_f64_e32 v[0:1], v[0:1], v[106:107]
	v_mul_f64_e32 v[106:107], s[34:35], v[96:97]
	s_wait_loadcnt 0x0
	v_add_f64_e64 v[200:201], v[200:201], -v[88:89]
	scratch_load_b64 v[88:89], off, off offset:424 th:TH_LOAD_LU ; 8-byte Folded Reload
	v_add_f64_e32 v[6:7], v[4:5], v[6:7]
	v_add_f64_e32 v[106:107], v[233:234], v[106:107]
	;; [unrolled: 1-line block ×3, first 2 shown]
	s_delay_alu instid0(VALU_DEP_2) | instskip(SKIP_1) | instid1(VALU_DEP_2)
	v_add_f64_e32 v[32:33], v[106:107], v[32:33]
	v_mul_f64_e32 v[106:107], s[6:7], v[104:105]
	v_add_f64_e32 v[0:1], v[0:1], v[32:33]
	s_delay_alu instid0(VALU_DEP_2)
	v_add_f64_e64 v[106:107], v[106:107], -v[229:230]
	s_wait_loadcnt 0x0
	v_add_f64_e64 v[202:203], v[202:203], -v[88:89]
	scratch_load_b64 v[88:89], off, off offset:432 th:TH_LOAD_LU ; 8-byte Folded Reload
	v_add_f64_e32 v[38:39], v[202:203], v[38:39]
	s_wait_loadcnt 0x0
	v_add_f64_e64 v[196:197], v[196:197], -v[88:89]
	s_delay_alu instid0(VALU_DEP_1) | instskip(NEXT) | instid1(VALU_DEP_1)
	v_add_f64_e32 v[38:39], v[196:197], v[38:39]
	v_add_f64_e32 v[38:39], v[198:199], v[38:39]
	s_delay_alu instid0(VALU_DEP_1) | instskip(SKIP_1) | instid1(VALU_DEP_2)
	v_add_f64_e32 v[38:39], v[94:95], v[38:39]
	v_mul_f64_e32 v[94:95], s[30:31], v[148:149]
	v_add_f64_e32 v[36:37], v[168:169], v[38:39]
	s_delay_alu instid0(VALU_DEP_2) | instskip(SKIP_1) | instid1(VALU_DEP_2)
	v_add_f64_e64 v[94:95], v[94:95], -v[231:232]
	v_mul_f64_e32 v[38:39], s[16:17], v[132:133]
	v_add_f64_e32 v[4:5], v[94:95], v[36:37]
	v_mul_f64_e32 v[94:95], s[6:7], v[120:121]
	s_delay_alu instid0(VALU_DEP_3) | instskip(SKIP_2) | instid1(VALU_DEP_4)
	v_add_f64_e32 v[38:39], v[154:155], v[38:39]
	v_mul_f64_e32 v[154:155], s[24:25], v[92:93]
	v_mul_f64_e32 v[36:37], s[30:31], v[144:145]
	v_add_f64_e32 v[94:95], v[118:119], v[94:95]
	v_mul_f64_e32 v[118:119], s[30:31], v[128:129]
	s_delay_alu instid0(VALU_DEP_4) | instskip(NEXT) | instid1(VALU_DEP_4)
	v_add_f64_e64 v[154:155], v[154:155], -v[225:226]
	v_add_f64_e32 v[36:37], v[188:189], v[36:37]
	s_delay_alu instid0(VALU_DEP_4) | instskip(NEXT) | instid1(VALU_DEP_4)
	v_add_f64_e32 v[0:1], v[94:95], v[0:1]
	v_add_f64_e64 v[118:119], v[118:119], -v[146:147]
	v_mul_f64_e32 v[146:147], s[16:17], v[116:117]
	v_mul_f64_e32 v[94:95], s[28:29], v[138:139]
	s_delay_alu instid0(VALU_DEP_4) | instskip(SKIP_1) | instid1(VALU_DEP_4)
	v_add_f64_e32 v[0:1], v[38:39], v[0:1]
	v_mul_f64_e32 v[38:39], s[8:9], v[158:159]
	v_add_f64_e64 v[98:99], v[146:147], -v[98:99]
	v_mul_f64_e32 v[146:147], s[34:35], v[84:85]
	v_add_f64_e64 v[86:87], v[94:95], -v[86:87]
	v_mul_f64_e32 v[94:95], s[30:31], v[96:97]
	v_add_f64_e32 v[0:1], v[36:37], v[0:1]
	v_add_f64_e32 v[38:39], v[110:111], v[38:39]
	v_mul_f64_e32 v[36:37], s[8:9], v[148:149]
	v_add_f64_e64 v[146:147], v[146:147], -v[217:218]
	v_mul_f64_e32 v[110:111], s[8:9], v[92:93]
	v_add_f64_e32 v[2:3], v[2:3], v[94:95]
	v_mul_f64_e32 v[94:95], s[20:21], v[128:129]
	v_add_f64_e64 v[36:37], v[36:37], -v[245:246]
	v_add_f64_e32 v[34:35], v[146:147], v[34:35]
	v_add_f64_e64 v[110:111], v[110:111], -v[247:248]
	v_add_f64_e32 v[2:3], v[2:3], v[74:75]
	v_add_f64_e64 v[94:95], v[94:95], -v[186:187]
	s_delay_alu instid0(VALU_DEP_4) | instskip(SKIP_1) | instid1(VALU_DEP_2)
	v_add_f64_e32 v[32:33], v[154:155], v[34:35]
	v_mul_f64_e32 v[34:35], s[28:29], v[152:153]
	v_add_f64_e32 v[32:33], v[106:107], v[32:33]
	s_delay_alu instid0(VALU_DEP_2) | instskip(SKIP_2) | instid1(VALU_DEP_4)
	v_add_f64_e32 v[34:35], v[122:123], v[34:35]
	v_mul_f64_e32 v[106:107], s[30:31], v[84:85]
	v_mul_f64_e32 v[122:123], s[44:45], v[176:177]
	v_add_f64_e32 v[32:33], v[98:99], v[32:33]
	s_delay_alu instid0(VALU_DEP_4) | instskip(NEXT) | instid1(VALU_DEP_4)
	v_add_f64_e32 v[0:1], v[34:35], v[0:1]
	v_add_f64_e64 v[106:107], v[106:107], -v[227:228]
	v_mul_f64_e32 v[98:99], s[34:35], v[116:117]
	s_delay_alu instid0(VALU_DEP_4) | instskip(NEXT) | instid1(VALU_DEP_4)
	v_add_f64_e32 v[32:33], v[118:119], v[32:33]
	v_add_f64_e32 v[34:35], v[38:39], v[0:1]
	v_mul_f64_e32 v[38:39], s[16:17], v[120:121]
	v_add_f64_e32 v[74:75], v[106:107], v[76:77]
	v_mul_f64_e32 v[76:77], s[16:17], v[104:105]
	v_mul_f64_e32 v[0:1], s[20:21], v[144:145]
	v_add_f64_e64 v[98:99], v[98:99], -v[150:151]
	v_add_f64_e32 v[32:33], v[86:87], v[32:33]
	v_mul_f64_e32 v[86:87], s[8:9], v[108:109]
	v_add_f64_e32 v[38:39], v[180:181], v[38:39]
	v_add_f64_e32 v[74:75], v[110:111], v[74:75]
	v_add_f64_e64 v[8:9], v[76:77], -v[8:9]
	v_add_f64_e32 v[0:1], v[192:193], v[0:1]
	v_mul_f64_e32 v[76:77], s[6:7], v[152:153]
	v_add_f64_e32 v[32:33], v[36:37], v[32:33]
	v_add_f64_e32 v[86:87], v[134:135], v[86:87]
	v_mul_f64_e32 v[36:37], s[34:35], v[132:133]
	v_add_f64_e32 v[8:9], v[8:9], v[74:75]
	v_add_f64_e32 v[76:77], v[184:185], v[76:77]
	s_delay_alu instid0(VALU_DEP_4) | instskip(NEXT) | instid1(VALU_DEP_4)
	v_add_f64_e32 v[2:3], v[86:87], v[2:3]
	v_add_f64_e32 v[36:37], v[190:191], v[36:37]
	s_delay_alu instid0(VALU_DEP_4) | instskip(NEXT) | instid1(VALU_DEP_3)
	v_add_f64_e32 v[8:9], v[98:99], v[8:9]
	v_add_f64_e32 v[2:3], v[38:39], v[2:3]
	v_mul_f64_e32 v[38:39], s[6:7], v[138:139]
	s_delay_alu instid0(VALU_DEP_2) | instskip(NEXT) | instid1(VALU_DEP_2)
	v_add_f64_e32 v[2:3], v[36:37], v[2:3]
	v_add_f64_e64 v[38:39], v[38:39], -v[140:141]
	v_mul_f64_e32 v[36:37], s[28:29], v[158:159]
	s_delay_alu instid0(VALU_DEP_3) | instskip(SKIP_2) | instid1(VALU_DEP_4)
	v_add_f64_e32 v[0:1], v[0:1], v[2:3]
	v_add_f64_e32 v[2:3], v[94:95], v[8:9]
	v_mul_f64_e32 v[8:9], s[28:29], v[148:149]
	v_add_f64_e32 v[36:37], v[166:167], v[36:37]
	s_delay_alu instid0(VALU_DEP_4) | instskip(NEXT) | instid1(VALU_DEP_4)
	v_add_f64_e32 v[0:1], v[76:77], v[0:1]
	v_add_f64_e32 v[38:39], v[38:39], v[2:3]
	s_delay_alu instid0(VALU_DEP_4) | instskip(NEXT) | instid1(VALU_DEP_3)
	v_add_f64_e64 v[8:9], v[8:9], -v[130:131]
	v_add_f64_e32 v[2:3], v[36:37], v[0:1]
	s_delay_alu instid0(VALU_DEP_2) | instskip(SKIP_1) | instid1(VALU_DEP_1)
	v_add_f64_e32 v[0:1], v[8:9], v[38:39]
	v_mul_f64_e32 v[8:9], s[24:25], v[96:97]
	v_fma_f64 v[36:37], v[100:101], s[50:51], v[8:9]
	v_fma_f64 v[8:9], v[100:101], s[26:27], v[8:9]
	s_delay_alu instid0(VALU_DEP_2) | instskip(SKIP_1) | instid1(VALU_DEP_3)
	v_add_f64_e32 v[36:37], v[36:37], v[72:73]
	v_mul_f64_e32 v[72:73], s[50:51], v[102:103]
	v_add_f64_e32 v[8:9], v[8:9], v[70:71]
	scratch_load_b64 v[70:71], off, off offset:48 th:TH_LOAD_LU ; 8-byte Folded Reload
	v_fma_f64 v[38:39], v[84:85], s[24:25], -v[72:73]
	v_fma_f64 v[60:61], v[84:85], s[24:25], v[72:73]
	s_delay_alu instid0(VALU_DEP_2) | instskip(SKIP_1) | instid1(VALU_DEP_3)
	v_add_f64_e32 v[38:39], v[38:39], v[56:57]
	v_mul_f64_e32 v[56:57], s[6:7], v[108:109]
	v_add_f64_e32 v[60:61], v[60:61], v[62:63]
	scratch_load_b64 v[62:63], off, off offset:144 th:TH_LOAD_LU ; 8-byte Folded Reload
	v_fma_f64 v[74:75], v[112:113], s[0:1], v[56:57]
	v_fma_f64 v[56:57], v[112:113], s[42:43], v[56:57]
	s_delay_alu instid0(VALU_DEP_2) | instskip(SKIP_1) | instid1(VALU_DEP_3)
	v_add_f64_e32 v[36:37], v[74:75], v[36:37]
	v_mul_f64_e32 v[74:75], s[0:1], v[114:115]
	v_add_f64_e32 v[8:9], v[56:57], v[8:9]
	s_delay_alu instid0(VALU_DEP_2) | instskip(SKIP_1) | instid1(VALU_DEP_2)
	v_fma_f64 v[76:77], v[92:93], s[6:7], -v[74:75]
	v_fma_f64 v[56:57], v[92:93], s[6:7], v[74:75]
	v_add_f64_e32 v[38:39], v[76:77], v[38:39]
	v_mul_f64_e32 v[76:77], s[30:31], v[120:121]
	s_delay_alu instid0(VALU_DEP_3) | instskip(SKIP_3) | instid1(VALU_DEP_2)
	v_add_f64_e32 v[56:57], v[56:57], v[60:61]
	scratch_load_b64 v[60:61], off, off offset:64 th:TH_LOAD_LU ; 8-byte Folded Reload
	v_fma_f64 v[86:87], v[126:127], s[40:41], v[76:77]
	v_fma_f64 v[54:55], v[126:127], s[36:37], v[76:77]
	v_add_f64_e32 v[36:37], v[86:87], v[36:37]
	v_mul_f64_e32 v[86:87], s[40:41], v[124:125]
	s_delay_alu instid0(VALU_DEP_3) | instskip(SKIP_3) | instid1(VALU_DEP_4)
	v_add_f64_e32 v[8:9], v[54:55], v[8:9]
	v_mul_f64_e32 v[124:125], s[16:17], v[158:159]
	s_wait_loadcnt 0x2
	v_add_f64_e64 v[68:69], v[68:69], -v[70:71]
	v_fma_f64 v[94:95], v[104:105], s[30:31], -v[86:87]
	v_fma_f64 v[54:55], v[104:105], s[30:31], v[86:87]
	s_delay_alu instid0(VALU_DEP_4) | instskip(NEXT) | instid1(VALU_DEP_3)
	v_fma_f64 v[58:59], v[174:175], s[18:19], v[124:125]
	v_add_f64_e32 v[38:39], v[94:95], v[38:39]
	v_mul_f64_e32 v[94:95], s[20:21], v[132:133]
	s_delay_alu instid0(VALU_DEP_4) | instskip(SKIP_3) | instid1(VALU_DEP_2)
	v_add_f64_e32 v[54:55], v[54:55], v[56:57]
	scratch_load_b64 v[56:57], off, off offset:128 th:TH_LOAD_LU ; 8-byte Folded Reload
	v_fma_f64 v[98:99], v[142:143], s[56:57], v[94:95]
	v_fma_f64 v[52:53], v[142:143], s[22:23], v[94:95]
	v_add_f64_e32 v[36:37], v[98:99], v[36:37]
	v_mul_f64_e32 v[98:99], s[56:57], v[136:137]
	s_delay_alu instid0(VALU_DEP_3) | instskip(NEXT) | instid1(VALU_DEP_2)
	v_add_f64_e32 v[8:9], v[52:53], v[8:9]
	v_fma_f64 v[102:103], v[116:117], s[20:21], -v[98:99]
	v_fma_f64 v[52:53], v[116:117], s[20:21], v[98:99]
	s_delay_alu instid0(VALU_DEP_2) | instskip(SKIP_1) | instid1(VALU_DEP_3)
	v_add_f64_e32 v[38:39], v[102:103], v[38:39]
	v_mul_f64_e32 v[102:103], s[8:9], v[144:145]
	v_add_f64_e32 v[52:53], v[52:53], v[54:55]
	scratch_load_b64 v[54:55], off, off offset:160 th:TH_LOAD_LU ; 8-byte Folded Reload
	v_fma_f64 v[106:107], v[156:157], s[10:11], v[102:103]
	v_fma_f64 v[50:51], v[156:157], s[48:49], v[102:103]
	s_delay_alu instid0(VALU_DEP_2) | instskip(SKIP_1) | instid1(VALU_DEP_3)
	v_add_f64_e32 v[36:37], v[106:107], v[36:37]
	v_mul_f64_e32 v[106:107], s[10:11], v[162:163]
	v_add_f64_e32 v[8:9], v[50:51], v[8:9]
	s_delay_alu instid0(VALU_DEP_2) | instskip(SKIP_1) | instid1(VALU_DEP_2)
	v_fma_f64 v[110:111], v[128:129], s[8:9], -v[106:107]
	v_fma_f64 v[50:51], v[128:129], s[8:9], v[106:107]
	v_add_f64_e32 v[38:39], v[110:111], v[38:39]
	v_mul_f64_e32 v[110:111], s[34:35], v[152:153]
	s_delay_alu instid0(VALU_DEP_3) | instskip(SKIP_1) | instid1(VALU_DEP_3)
	v_add_f64_e32 v[50:51], v[50:51], v[52:53]
	v_fma_f64 v[52:53], v[148:149], s[16:17], v[122:123]
	v_fma_f64 v[114:115], v[170:171], s[38:39], v[110:111]
	;; [unrolled: 1-line block ×3, first 2 shown]
	s_delay_alu instid0(VALU_DEP_2) | instskip(SKIP_1) | instid1(VALU_DEP_3)
	v_add_f64_e32 v[36:37], v[114:115], v[36:37]
	v_mul_f64_e32 v[114:115], s[38:39], v[172:173]
	v_add_f64_e32 v[8:9], v[48:49], v[8:9]
	s_delay_alu instid0(VALU_DEP_2) | instskip(SKIP_1) | instid1(VALU_DEP_2)
	v_fma_f64 v[48:49], v[138:139], s[34:35], v[114:115]
	v_fma_f64 v[118:119], v[138:139], s[34:35], -v[114:115]
	v_add_f64_e32 v[48:49], v[48:49], v[50:51]
	s_delay_alu instid0(VALU_DEP_4)
	v_add_f64_e32 v[50:51], v[58:59], v[8:9]
	scratch_load_b64 v[58:59], off, off offset:96 th:TH_LOAD_LU ; 8-byte Folded Reload
	v_mul_f64_e32 v[8:9], s[28:29], v[144:145]
	v_add_f64_e32 v[118:119], v[118:119], v[38:39]
	v_fma_f64 v[38:39], v[174:175], s[44:45], v[124:125]
	v_add_f64_e32 v[48:49], v[52:53], v[48:49]
	scratch_load_b64 v[52:53], off, off offset:192 th:TH_LOAD_LU ; 8-byte Folded Reload
	v_add_f64_e32 v[38:39], v[38:39], v[36:37]
	v_fma_f64 v[36:37], v[148:149], s[16:17], -v[122:123]
	s_delay_alu instid0(VALU_DEP_1) | instskip(SKIP_3) | instid1(VALU_DEP_1)
	v_add_f64_e32 v[36:37], v[36:37], v[118:119]
	s_wait_loadcnt 0x0
	v_add_f64_e32 v[8:9], v[52:53], v[8:9]
	v_mul_f64_e32 v[52:53], s[24:25], v[132:133]
	v_add_f64_e32 v[52:53], v[54:55], v[52:53]
	v_mul_f64_e32 v[54:55], s[20:21], v[120:121]
	s_delay_alu instid0(VALU_DEP_1) | instskip(SKIP_1) | instid1(VALU_DEP_1)
	v_add_f64_e32 v[54:55], v[56:57], v[54:55]
	v_mul_f64_e32 v[56:57], s[16:17], v[108:109]
	v_add_f64_e32 v[56:57], v[58:59], v[56:57]
	v_mul_f64_e32 v[58:59], s[8:9], v[96:97]
	s_delay_alu instid0(VALU_DEP_1) | instskip(SKIP_1) | instid1(VALU_DEP_2)
	v_add_f64_e32 v[58:59], v[60:61], v[58:59]
	v_mul_f64_e32 v[60:61], s[28:29], v[128:129]
	v_add_f64_e32 v[14:15], v[58:59], v[14:15]
	s_delay_alu instid0(VALU_DEP_2) | instskip(SKIP_1) | instid1(VALU_DEP_3)
	v_add_f64_e64 v[60:61], v[60:61], -v[62:63]
	v_mul_f64_e32 v[62:63], s[24:25], v[116:117]
	v_add_f64_e32 v[14:15], v[56:57], v[14:15]
	s_delay_alu instid0(VALU_DEP_2) | instskip(SKIP_1) | instid1(VALU_DEP_3)
	v_add_f64_e64 v[62:63], v[62:63], -v[66:67]
	v_mul_f64_e32 v[66:67], s[8:9], v[84:85]
	v_add_f64_e32 v[14:15], v[54:55], v[14:15]
	s_delay_alu instid0(VALU_DEP_2) | instskip(NEXT) | instid1(VALU_DEP_2)
	v_add_f64_e64 v[66:67], v[66:67], -v[249:250]
	v_add_f64_e32 v[14:15], v[52:53], v[14:15]
	s_delay_alu instid0(VALU_DEP_2)
	v_add_f64_e32 v[58:59], v[66:67], v[64:65]
	scratch_load_b64 v[66:67], off, off offset:80 th:TH_LOAD_LU ; 8-byte Folded Reload
	v_mul_f64_e32 v[64:65], s[20:21], v[104:105]
	v_add_f64_e32 v[8:9], v[8:9], v[14:15]
	v_add_f64_e32 v[56:57], v[68:69], v[58:59]
	v_mul_f64_e32 v[58:59], s[30:31], v[152:153]
	s_wait_loadcnt 0x0
	s_delay_alu instid0(VALU_DEP_4)
	v_add_f64_e64 v[64:65], v[64:65], -v[66:67]
	scratch_load_b64 v[66:67], off, off offset:224 th:TH_LOAD_LU ; 8-byte Folded Reload
	v_add_f64_e32 v[54:55], v[64:65], v[56:57]
	scratch_load_b64 v[64:65], off, off offset:176 th:TH_LOAD_LU ; 8-byte Folded Reload
	v_mul_f64_e32 v[56:57], s[30:31], v[138:139]
	v_add_f64_e32 v[52:53], v[62:63], v[54:55]
	scratch_load_b64 v[62:63], off, off offset:240 th:TH_LOAD_LU ; 8-byte Folded Reload
	v_mul_f64_e32 v[54:55], s[34:35], v[158:159]
	v_add_f64_e32 v[14:15], v[60:61], v[52:53]
	scratch_load_b64 v[60:61], off, off offset:208 th:TH_LOAD_LU ; 8-byte Folded Reload
	v_mul_f64_e32 v[52:53], s[34:35], v[148:149]
	s_wait_loadcnt 0x3
	v_add_f64_e32 v[58:59], v[66:67], v[58:59]
	s_delay_alu instid0(VALU_DEP_1) | instskip(SKIP_4) | instid1(VALU_DEP_2)
	v_add_f64_e32 v[8:9], v[58:59], v[8:9]
	s_wait_loadcnt 0x2
	v_add_f64_e64 v[56:57], v[56:57], -v[64:65]
	s_wait_loadcnt 0x1
	v_add_f64_e32 v[54:55], v[62:63], v[54:55]
	v_add_f64_e32 v[14:15], v[56:57], v[14:15]
	s_delay_alu instid0(VALU_DEP_2) | instskip(SKIP_3) | instid1(VALU_DEP_2)
	v_add_f64_e32 v[54:55], v[54:55], v[8:9]
	v_mul_lo_u16 v8, v253, 17
	s_wait_loadcnt 0x0
	v_add_f64_e64 v[52:53], v[52:53], -v[60:61]
	v_and_b32_e32 v8, 0xffff, v8
	s_delay_alu instid0(VALU_DEP_1)
	v_add_lshl_u32 v8, v210, v8, 4
	ds_store_b128 v8, v[28:31] offset:32
	ds_store_b128 v8, v[4:7] offset:48
	;; [unrolled: 1-line block ×7, first 2 shown]
	scratch_load_b128 v[0:3], off, off offset:32 ; 16-byte Folded Reload
	v_add_f64_e32 v[52:53], v[52:53], v[14:15]
	s_wait_loadcnt 0x0
	ds_store_b128 v8, v[0:3] offset:192
	scratch_load_b128 v[0:3], off, off offset:16 ; 16-byte Folded Reload
	s_wait_loadcnt 0x0
	ds_store_b128 v8, v[0:3] offset:208
	scratch_load_b128 v[0:3], off, off      ; 16-byte Folded Reload
	s_wait_loadcnt 0x0
	ds_store_b128 v8, v[0:3] offset:224
	ds_store_b128 v8, v[241:244] offset:240
	;; [unrolled: 1-line block ×6, first 2 shown]
	ds_store_b128 v8, v[16:19]
	ds_store_b128 v8, v[44:47] offset:256
.LBB0_7:
	s_or_b32 exec_lo, exec_lo, s33
	v_add_co_u32 v0, null, 0xcc, v253
	v_add_nc_u16 v1, v253, 0x66
	v_and_b32_e32 v3, 0xff, v253
	v_add_co_u32 v6, null, 0x132, v253
	s_delay_alu instid0(VALU_DEP_4) | instskip(NEXT) | instid1(VALU_DEP_4)
	v_and_b32_e32 v2, 0xffff, v0
	v_and_b32_e32 v11, 0xff, v1
	s_delay_alu instid0(VALU_DEP_4) | instskip(NEXT) | instid1(VALU_DEP_4)
	v_mul_lo_u16 v3, 0xf1, v3
	v_and_b32_e32 v4, 0xffff, v6
	s_load_b128 s[4:7], s[4:5], 0x0
	v_mul_u32_u24_e32 v5, 0xf0f1, v2
	v_mul_lo_u16 v7, 0xf1, v11
	v_lshrrev_b16 v10, 12, v3
	v_mul_u32_u24_e32 v4, 0xf0f1, v4
	global_wb scope:SCOPE_SE
	s_wait_dscnt 0x0
	v_lshrrev_b32_e32 v3, 20, v5
	v_lshrrev_b16 v9, 12, v7
	v_mul_lo_u16 v5, v10, 17
	v_lshrrev_b32_e32 v4, 20, v4
	s_wait_kmcnt 0x0
	s_barrier_signal -1
	v_mul_lo_u16 v7, v3, 17
	v_mul_lo_u16 v8, v9, 17
	v_sub_nc_u16 v12, v253, v5
	v_mul_lo_u16 v13, v4, 17
	s_barrier_wait -1
	v_sub_nc_u16 v5, v0, v7
	v_sub_nc_u16 v14, v1, v8
	v_and_b32_e32 v7, 0xff, v12
	v_sub_nc_u16 v8, v6, v13
	global_inv scope:SCOPE_SE
	v_lshlrev_b16 v12, 1, v5
	v_and_b32_e32 v6, 0xff, v14
	v_lshlrev_b32_e32 v13, 5, v7
	v_lshlrev_b16 v14, 1, v8
	s_clause 0x1
	global_load_b128 v[30:33], v13, s[2:3]
	global_load_b128 v[18:21], v13, s[2:3] offset:16
	v_and_b32_e32 v12, 0xffff, v12
	v_and_b32_e32 v13, 0xffff, v14
	v_lshlrev_b32_e32 v15, 5, v6
	s_clause 0x1
	global_load_b128 v[34:37], v15, s[2:3]
	global_load_b128 v[22:25], v15, s[2:3] offset:16
	v_lshlrev_b32_e32 v12, 4, v12
	v_lshlrev_b32_e32 v13, 4, v13
	s_clause 0x3
	global_load_b128 v[26:29], v12, s[2:3]
	global_load_b128 v[14:17], v12, s[2:3] offset:16
	global_load_b128 v[88:91], v13, s[2:3]
	global_load_b128 v[38:41], v13, s[2:3] offset:16
	v_add_lshl_u32 v186, v210, v253, 4
	ds_load_b128 v[48:51], v186 offset:6528
	ds_load_b128 v[52:55], v186 offset:13056
	;; [unrolled: 1-line block ×8, first 2 shown]
	s_mov_b32 s8, 0xe8584caa
	s_mov_b32 s9, 0x3febb67a
	;; [unrolled: 1-line block ×3, first 2 shown]
	s_wait_alu 0xfffe
	s_mov_b32 s10, s8
	v_subrev_nc_u32_e32 v12, 51, v253
	v_cmp_gt_u16_e64 s0, 51, v253
	v_mul_u32_u24_e32 v2, 0xa0a1, v2
	v_mul_lo_u16 v11, 0xa1, v11
	v_and_b32_e32 v10, 0xffff, v10
	v_mad_u16 v3, v3, 51, v5
	s_wait_alu 0xf1ff
	v_cndmask_b32_e64 v12, v12, v253, s0
	v_mad_u16 v4, v4, 51, v8
	s_delay_alu instid0(VALU_DEP_3) | instskip(NEXT) | instid1(VALU_DEP_3)
	v_and_b32_e32 v3, 0xffff, v3
	v_mul_hi_i32_i24_e32 v13, 48, v12
	s_delay_alu instid0(VALU_DEP_3) | instskip(NEXT) | instid1(VALU_DEP_3)
	v_and_b32_e32 v4, 0xffff, v4
	v_add_lshl_u32 v3, v210, v3, 4
	s_wait_loadcnt_dscnt 0x707
	v_mul_f64_e32 v[80:81], v[50:51], v[32:33]
	v_mul_f64_e32 v[82:83], v[48:49], v[32:33]
	s_wait_loadcnt_dscnt 0x606
	v_mul_f64_e32 v[84:85], v[54:55], v[20:21]
	v_mul_f64_e32 v[86:87], v[52:53], v[20:21]
	s_clause 0x1
	scratch_store_b128 off, v[30:33], off offset:112
	scratch_store_b128 off, v[18:21], off offset:64
	s_wait_loadcnt_dscnt 0x505
	v_mul_f64_e32 v[92:93], v[58:59], v[36:37]
	v_mul_f64_e32 v[94:95], v[56:57], v[36:37]
	s_wait_loadcnt_dscnt 0x404
	v_mul_f64_e32 v[96:97], v[62:63], v[24:25]
	v_mul_f64_e32 v[98:99], v[60:61], v[24:25]
	s_wait_loadcnt_dscnt 0x303
	v_mul_f64_e32 v[100:101], v[66:67], v[28:29]
	s_wait_loadcnt 0x2
	scratch_store_b128 off, v[14:17], off offset:48 ; 16-byte Folded Spill
	v_mul_f64_e32 v[102:103], v[64:65], v[28:29]
	s_wait_dscnt 0x2
	v_mul_f64_e32 v[104:105], v[70:71], v[16:17]
	v_mul_f64_e32 v[106:107], v[68:69], v[16:17]
	s_wait_loadcnt_dscnt 0x101
	v_mul_f64_e32 v[108:109], v[74:75], v[90:91]
	v_mul_f64_e32 v[110:111], v[72:73], v[90:91]
	s_wait_loadcnt_dscnt 0x0
	v_mul_f64_e32 v[112:113], v[78:79], v[40:41]
	v_mul_f64_e32 v[114:115], v[76:77], v[40:41]
	s_clause 0x4
	scratch_store_b128 off, v[34:37], off offset:128
	scratch_store_b128 off, v[22:25], off offset:80
	;; [unrolled: 1-line block ×5, first 2 shown]
	v_and_b32_e32 v16, 0xffff, v9
	v_fma_f64 v[80:81], v[48:49], v[30:31], -v[80:81]
	v_fma_f64 v[82:83], v[50:51], v[30:31], v[82:83]
	v_fma_f64 v[84:85], v[52:53], v[18:19], -v[84:85]
	v_fma_f64 v[86:87], v[54:55], v[18:19], v[86:87]
	ds_load_b128 v[48:51], v186
	ds_load_b128 v[52:55], v186 offset:1632
	v_fma_f64 v[92:93], v[56:57], v[34:35], -v[92:93]
	v_fma_f64 v[94:95], v[58:59], v[34:35], v[94:95]
	v_fma_f64 v[96:97], v[60:61], v[22:23], -v[96:97]
	v_fma_f64 v[98:99], v[62:63], v[22:23], v[98:99]
	v_fma_f64 v[64:65], v[64:65], v[26:27], -v[100:101]
	ds_load_b128 v[56:59], v186 offset:3264
	ds_load_b128 v[60:63], v186 offset:4896
	v_fma_f64 v[66:67], v[66:67], v[26:27], v[102:103]
	v_fma_f64 v[68:69], v[68:69], v[14:15], -v[104:105]
	v_fma_f64 v[70:71], v[70:71], v[14:15], v[106:107]
	v_fma_f64 v[72:73], v[72:73], v[88:89], -v[108:109]
	;; [unrolled: 2-line block ×3, first 2 shown]
	v_fma_f64 v[78:79], v[78:79], v[38:39], v[114:115]
	v_lshrrev_b32_e32 v15, 21, v2
	v_lshrrev_b16 v14, 13, v11
	v_mul_i32_i24_e32 v2, 48, v12
	v_mul_u32_u24_e32 v11, 51, v10
	global_wb scope:SCOPE_SE
	s_wait_storecnt_dscnt 0x0
	v_mul_lo_u16 v18, v15, 51
	v_mul_lo_u16 v17, v14, 51
	v_add_co_u32 v9, s0, s2, v2
	s_wait_alu 0xf1ff
	v_add_co_ci_u32_e64 v10, s0, s3, v13, s0
	v_mul_u32_u24_e32 v2, 51, v16
	v_sub_nc_u16 v13, v0, v18
	v_sub_nc_u16 v1, v1, v17
	v_add_nc_u32_e32 v0, v11, v7
	s_barrier_signal -1
	v_add_nc_u32_e32 v2, v2, v6
	v_add_f64_e32 v[116:117], v[48:49], v[80:81]
	v_mul_lo_u16 v5, v13, 48
	v_add_f64_e32 v[100:101], v[80:81], v[84:85]
	v_add_f64_e32 v[102:103], v[82:83], v[86:87]
	v_add_f64_e64 v[118:119], v[82:83], -v[86:87]
	v_add_f64_e32 v[82:83], v[50:51], v[82:83]
	v_add_f64_e64 v[80:81], v[80:81], -v[84:85]
	v_and_b32_e32 v16, 0xff, v1
	v_add_f64_e32 v[120:121], v[52:53], v[92:93]
	v_add_f64_e32 v[122:123], v[54:55], v[94:95]
	;; [unrolled: 1-line block ×5, first 2 shown]
	v_add_f64_e64 v[94:95], v[94:95], -v[98:99]
	v_add_f64_e32 v[126:127], v[58:59], v[66:67]
	v_add_f64_e32 v[108:109], v[64:65], v[68:69]
	;; [unrolled: 1-line block ×7, first 2 shown]
	v_add_f64_e64 v[92:93], v[92:93], -v[96:97]
	v_add_f64_e64 v[132:133], v[66:67], -v[70:71]
	;; [unrolled: 1-line block ×5, first 2 shown]
	v_add_lshl_u32 v7, v210, v0, 4
	v_and_b32_e32 v5, 0xffff, v5
	v_add_lshl_u32 v6, v210, v2, 4
	v_add_lshl_u32 v2, v210, v4, 4
	v_mad_co_u64_u32 v[0:1], null, v16, 48, s[2:3]
	s_barrier_wait -1
	global_inv scope:SCOPE_SE
	v_and_b32_e32 v14, 0xffff, v14
	v_mad_u16 v13, 0xcc, v15, v13
	s_delay_alu instid0(VALU_DEP_2)
	v_mul_u32_u24_e32 v14, 0xcc, v14
	v_fma_f64 v[100:101], v[100:101], -0.5, v[48:49]
	v_fma_f64 v[102:103], v[102:103], -0.5, v[50:51]
	v_add_f64_e32 v[48:49], v[116:117], v[84:85]
	v_add_f64_e32 v[50:51], v[82:83], v[86:87]
	v_add_nc_u32_e32 v14, v14, v16
	v_and_b32_e32 v13, 0xffff, v13
	v_fma_f64 v[104:105], v[104:105], -0.5, v[52:53]
	v_fma_f64 v[106:107], v[106:107], -0.5, v[54:55]
	v_add_f64_e32 v[52:53], v[120:121], v[96:97]
	v_add_f64_e32 v[54:55], v[122:123], v[98:99]
	v_add_lshl_u32 v14, v210, v14, 4
	v_fma_f64 v[108:109], v[108:109], -0.5, v[56:57]
	v_fma_f64 v[110:111], v[110:111], -0.5, v[58:59]
	v_add_f64_e32 v[56:57], v[124:125], v[68:69]
	v_add_f64_e32 v[58:59], v[126:127], v[70:71]
	v_fma_f64 v[112:113], v[112:113], -0.5, v[60:61]
	v_fma_f64 v[114:115], v[114:115], -0.5, v[62:63]
	v_add_f64_e32 v[60:61], v[128:129], v[76:77]
	v_add_f64_e32 v[62:63], v[130:131], v[78:79]
	s_wait_alu 0xfffe
	v_fma_f64 v[68:69], v[118:119], s[10:11], v[100:101]
	v_fma_f64 v[70:71], v[80:81], s[8:9], v[102:103]
	;; [unrolled: 1-line block ×4, first 2 shown]
	ds_store_b128 v7, v[48:51]
	ds_store_b128 v7, v[64:67] offset:272
	v_fma_f64 v[76:77], v[94:95], s[10:11], v[104:105]
	v_fma_f64 v[78:79], v[92:93], s[8:9], v[106:107]
	;; [unrolled: 1-line block ×12, first 2 shown]
	scratch_store_b32 off, v7, off offset:408 ; 4-byte Folded Spill
	ds_store_b128 v7, v[68:71] offset:544
	ds_store_b128 v6, v[52:55]
	ds_store_b128 v6, v[72:75] offset:272
	scratch_store_b32 off, v6, off offset:400 ; 4-byte Folded Spill
	ds_store_b128 v6, v[76:79] offset:544
	ds_store_b128 v3, v[56:59]
	ds_store_b128 v3, v[80:83] offset:272
	scratch_store_b32 off, v3, off offset:392 ; 4-byte Folded Spill
	ds_store_b128 v3, v[84:87] offset:544
	ds_store_b128 v2, v[60:63]
	ds_store_b128 v2, v[92:95] offset:272
	scratch_store_b32 off, v2, off offset:384 ; 4-byte Folded Spill
	ds_store_b128 v2, v[96:99] offset:544
	v_add_co_u32 v2, s0, s2, v5
	s_wait_alu 0xf1ff
	v_add_co_ci_u32_e64 v3, null, s3, 0, s0
	global_wb scope:SCOPE_SE
	s_wait_storecnt_dscnt 0x0
	s_barrier_signal -1
	s_barrier_wait -1
	global_inv scope:SCOPE_SE
	s_clause 0x8
	global_load_b128 v[37:40], v[9:10], off offset:544
	global_load_b128 v[33:36], v[9:10], off offset:560
	;; [unrolled: 1-line block ×9, first 2 shown]
	ds_load_b128 v[0:3], v186 offset:4896
	ds_load_b128 v[4:7], v186 offset:9792
	;; [unrolled: 1-line block ×10, first 2 shown]
	v_cmp_lt_u16_e64 s0, 50, v253
	s_wait_loadcnt_dscnt 0x809
	v_mul_f64_e32 v[116:117], v[2:3], v[39:40]
	v_mul_f64_e32 v[118:119], v[0:1], v[39:40]
	s_wait_loadcnt_dscnt 0x708
	v_mul_f64_e32 v[120:121], v[6:7], v[35:36]
	s_wait_loadcnt_dscnt 0x607
	v_mul_f64_e32 v[124:125], v[10:11], v[27:28]
	v_mul_f64_e32 v[126:127], v[8:9], v[27:28]
	s_wait_loadcnt_dscnt 0x506
	v_mul_f64_e32 v[128:129], v[86:87], v[23:24]
	;; [unrolled: 3-line block ×7, first 2 shown]
	v_mul_f64_e32 v[150:151], v[108:109], v[50:51]
	v_mul_f64_e32 v[122:123], v[4:5], v[35:36]
	s_clause 0x8
	scratch_store_b128 off, v[37:40], off offset:256
	scratch_store_b128 off, v[33:36], off offset:240
	;; [unrolled: 1-line block ×9, first 2 shown]
	v_fma_f64 v[116:117], v[0:1], v[37:38], -v[116:117]
	v_fma_f64 v[118:119], v[2:3], v[37:38], v[118:119]
	v_fma_f64 v[120:121], v[4:5], v[33:34], -v[120:121]
	v_fma_f64 v[8:9], v[8:9], v[25:26], -v[124:125]
	v_fma_f64 v[10:11], v[10:11], v[25:26], v[126:127]
	v_fma_f64 v[84:85], v[84:85], v[21:22], -v[128:129]
	v_fma_f64 v[86:87], v[86:87], v[21:22], v[130:131]
	;; [unrolled: 2-line block ×7, first 2 shown]
	v_fma_f64 v[122:123], v[6:7], v[33:34], v[122:123]
	ds_load_b128 v[0:3], v186
	ds_load_b128 v[4:7], v186 offset:1632
	s_wait_alu 0xf1ff
	v_cndmask_b32_e64 v17, 0, 0xcc, s0
	global_wb scope:SCOPE_SE
	s_wait_storecnt_dscnt 0x0
	s_barrier_signal -1
	s_barrier_wait -1
	global_inv scope:SCOPE_SE
	v_add_nc_u32_e32 v12, v12, v17
	s_delay_alu instid0(VALU_DEP_1)
	v_add_lshl_u32 v15, v210, v12, 4
	v_add_lshl_u32 v12, v210, v13, 4
	v_add_f64_e64 v[120:121], v[0:1], -v[120:121]
	v_add_f64_e64 v[8:9], v[116:117], -v[8:9]
	;; [unrolled: 1-line block ×12, first 2 shown]
	v_fma_f64 v[106:107], v[0:1], 2.0, -v[120:121]
	v_fma_f64 v[98:99], v[116:117], 2.0, -v[8:9]
	v_fma_f64 v[108:109], v[118:119], 2.0, -v[10:11]
	v_add_f64_e64 v[0:1], v[120:121], -v[10:11]
	v_fma_f64 v[116:117], v[4:5], 2.0, -v[124:125]
	v_fma_f64 v[118:119], v[6:7], 2.0, -v[126:127]
	;; [unrolled: 1-line block ×4, first 2 shown]
	v_add_f64_e64 v[4:5], v[124:125], -v[94:95]
	v_fma_f64 v[132:133], v[112:113], 2.0, -v[128:129]
	v_fma_f64 v[134:135], v[114:115], 2.0, -v[130:131]
	;; [unrolled: 1-line block ×5, first 2 shown]
	v_add_f64_e32 v[2:3], v[122:123], v[8:9]
	v_add_f64_e32 v[94:95], v[130:131], v[104:105]
	v_add_f64_e64 v[8:9], v[106:107], -v[98:99]
	v_add_f64_e64 v[84:85], v[116:117], -v[6:7]
	;; [unrolled: 1-line block ×3, first 2 shown]
	v_add_f64_e32 v[6:7], v[126:127], v[92:93]
	v_add_f64_e64 v[92:93], v[128:129], -v[96:97]
	v_fma_f64 v[104:105], v[124:125], 2.0, -v[4:5]
	v_add_f64_e64 v[96:97], v[132:133], -v[100:101]
	v_add_f64_e64 v[98:99], v[134:135], -v[102:103]
	;; [unrolled: 1-line block ×3, first 2 shown]
	v_fma_f64 v[100:101], v[120:121], 2.0, -v[0:1]
	v_fma_f64 v[102:103], v[122:123], 2.0, -v[2:3]
	;; [unrolled: 1-line block ×8, first 2 shown]
	v_mad_co_u64_u32 v[128:129], null, 0x50, v253, s[2:3]
	v_fma_f64 v[120:121], v[132:133], 2.0, -v[96:97]
	v_fma_f64 v[122:123], v[134:135], 2.0, -v[98:99]
	;; [unrolled: 1-line block ×3, first 2 shown]
	ds_store_b128 v15, v[8:11] offset:1632
	ds_store_b128 v15, v[0:3] offset:2448
	ds_store_b128 v15, v[108:111]
	scratch_store_b32 off, v15, off offset:432 ; 4-byte Folded Spill
	ds_store_b128 v15, v[100:103] offset:816
	ds_store_b128 v14, v[112:115]
	ds_store_b128 v14, v[104:107] offset:816
	ds_store_b128 v14, v[84:87] offset:1632
	scratch_store_b32 off, v14, off offset:424 ; 4-byte Folded Spill
	ds_store_b128 v14, v[4:7] offset:2448
	ds_store_b128 v12, v[120:123]
	ds_store_b128 v12, v[116:119] offset:816
	ds_store_b128 v12, v[96:99] offset:1632
	scratch_store_b32 off, v12, off offset:416 ; 4-byte Folded Spill
	ds_store_b128 v12, v[92:95] offset:2448
	global_wb scope:SCOPE_SE
	s_wait_storecnt_dscnt 0x0
	s_barrier_signal -1
	s_barrier_wait -1
	global_inv scope:SCOPE_SE
	s_clause 0x9
	global_load_b128 v[104:107], v[128:129], off offset:3024
	global_load_b128 v[120:123], v[128:129], off offset:3056
	;; [unrolled: 1-line block ×10, first 2 shown]
	ds_load_b128 v[0:3], v186 offset:9792
	ds_load_b128 v[4:7], v186 offset:16320
	;; [unrolled: 1-line block ×6, first 2 shown]
	s_wait_loadcnt_dscnt 0x905
	v_mul_f64_e32 v[140:141], v[2:3], v[106:107]
	v_mul_f64_e32 v[142:143], v[0:1], v[106:107]
	s_wait_loadcnt_dscnt 0x804
	v_mul_f64_e32 v[144:145], v[4:5], v[122:123]
	v_mul_f64_e32 v[146:147], v[6:7], v[122:123]
	;; [unrolled: 3-line block ×6, first 2 shown]
	v_fma_f64 v[140:141], v[0:1], v[104:105], -v[140:141]
	v_fma_f64 v[142:143], v[2:3], v[104:105], v[142:143]
	v_fma_f64 v[144:145], v[6:7], v[120:121], v[144:145]
	v_fma_f64 v[146:147], v[4:5], v[120:121], -v[146:147]
	v_fma_f64 v[148:149], v[8:9], v[116:117], -v[148:149]
	v_fma_f64 v[150:151], v[10:11], v[116:117], v[150:151]
	v_fma_f64 v[152:153], v[130:131], v[124:125], v[152:153]
	v_fma_f64 v[154:155], v[128:129], v[124:125], -v[154:155]
	ds_load_b128 v[0:3], v186 offset:6528
	ds_load_b128 v[4:7], v186 offset:13056
	;; [unrolled: 1-line block ×4, first 2 shown]
	v_fma_f64 v[132:133], v[132:133], v[24:25], -v[156:157]
	v_fma_f64 v[134:135], v[134:135], v[24:25], v[158:159]
	v_fma_f64 v[136:137], v[136:137], v[12:13], -v[160:161]
	v_fma_f64 v[138:139], v[138:139], v[12:13], v[162:163]
	scratch_store_b128 off, v[24:27], off offset:368 ; 16-byte Folded Spill
	s_wait_loadcnt 0x1
	s_clause 0x1
	scratch_store_b128 off, v[20:23], off offset:352
	scratch_store_b128 off, v[12:15], off offset:320
	s_wait_loadcnt 0x0
	scratch_store_b128 off, v[16:19], off offset:336 ; 16-byte Folded Spill
	s_wait_dscnt 0x3
	v_mul_f64_e32 v[164:165], v[2:3], v[114:115]
	v_mul_f64_e32 v[166:167], v[0:1], v[114:115]
	s_wait_dscnt 0x2
	v_mul_f64_e32 v[168:169], v[6:7], v[110:111]
	v_mul_f64_e32 v[170:171], v[4:5], v[110:111]
	s_wait_dscnt 0x1
	v_mul_f64_e32 v[172:173], v[10:11], v[22:23]
	s_wait_dscnt 0x0
	v_mul_f64_e32 v[174:175], v[130:131], v[18:19]
	v_mul_f64_e32 v[176:177], v[8:9], v[22:23]
	v_mul_f64_e32 v[178:179], v[128:129], v[18:19]
	v_add_f64_e32 v[156:157], v[142:143], v[144:145]
	v_add_f64_e32 v[158:159], v[140:141], v[146:147]
	;; [unrolled: 1-line block ×4, first 2 shown]
	v_fma_f64 v[164:165], v[0:1], v[112:113], -v[164:165]
	v_fma_f64 v[166:167], v[2:3], v[112:113], v[166:167]
	v_fma_f64 v[168:169], v[4:5], v[108:109], -v[168:169]
	v_fma_f64 v[170:171], v[6:7], v[108:109], v[170:171]
	v_fma_f64 v[8:9], v[8:9], v[20:21], -v[172:173]
	v_fma_f64 v[128:129], v[128:129], v[16:17], -v[174:175]
	v_add_f64_e64 v[0:1], v[142:143], -v[144:145]
	v_add_f64_e64 v[2:3], v[140:141], -v[146:147]
	v_fma_f64 v[10:11], v[10:11], v[20:21], v[176:177]
	v_fma_f64 v[130:131], v[130:131], v[16:17], v[178:179]
	v_fma_f64 v[4:5], v[156:157], -0.5, v[134:135]
	v_fma_f64 v[6:7], v[158:159], -0.5, v[132:133]
	v_add_f64_e64 v[156:157], v[150:151], -v[152:153]
	v_add_f64_e64 v[158:159], v[148:149], -v[154:155]
	v_fma_f64 v[160:161], v[160:161], -0.5, v[138:139]
	v_fma_f64 v[162:163], v[162:163], -0.5, v[136:137]
	v_add_f64_e32 v[132:133], v[132:133], v[140:141]
	v_add_f64_e32 v[134:135], v[134:135], v[142:143]
	;; [unrolled: 1-line block ×6, first 2 shown]
	v_add_f64_e64 v[148:149], v[164:165], -v[168:169]
	v_add_f64_e32 v[176:177], v[8:9], v[128:129]
	v_add_f64_e32 v[187:188], v[10:11], v[130:131]
	v_fma_f64 v[178:179], v[2:3], s[10:11], v[4:5]
	v_fma_f64 v[180:181], v[0:1], s[10:11], v[6:7]
	;; [unrolled: 1-line block ×8, first 2 shown]
	ds_load_b128 v[0:3], v186
	ds_load_b128 v[4:7], v186 offset:1632
	v_add_f64_e64 v[162:163], v[166:167], -v[170:171]
	v_add_f64_e32 v[146:147], v[132:133], v[146:147]
	v_add_f64_e32 v[144:145], v[134:135], v[144:145]
	;; [unrolled: 1-line block ×4, first 2 shown]
	s_wait_dscnt 0x1
	v_add_f64_e32 v[160:161], v[0:1], v[164:165]
	v_add_f64_e32 v[166:167], v[2:3], v[166:167]
	s_wait_dscnt 0x0
	v_add_f64_e32 v[140:141], v[4:5], v[8:9]
	v_add_f64_e32 v[142:143], v[6:7], v[10:11]
	v_fma_f64 v[0:1], v[172:173], -0.5, v[0:1]
	v_fma_f64 v[2:3], v[174:175], -0.5, v[2:3]
	v_add_f64_e64 v[10:11], v[10:11], -v[130:131]
	v_fma_f64 v[4:5], v[176:177], -0.5, v[4:5]
	v_add_f64_e64 v[8:9], v[8:9], -v[128:129]
	v_fma_f64 v[6:7], v[187:188], -0.5, v[6:7]
	v_mul_f64_e32 v[150:151], s[8:9], v[178:179]
	v_mul_f64_e32 v[164:165], -0.5, v[180:181]
	v_mul_f64_e32 v[172:173], s[10:11], v[182:183]
	v_mul_f64_e32 v[174:175], -0.5, v[184:185]
	v_mul_f64_e32 v[176:177], s[8:9], v[189:190]
	v_mul_f64_e32 v[187:188], s[10:11], v[191:192]
	v_mul_f64_e32 v[193:194], -0.5, v[156:157]
	v_mul_f64_e32 v[195:196], -0.5, v[158:159]
	v_add_f64_e32 v[160:161], v[160:161], v[168:169]
	v_add_f64_e32 v[166:167], v[166:167], v[170:171]
	;; [unrolled: 1-line block ×4, first 2 shown]
	v_fma_f64 v[197:198], v[162:163], s[8:9], v[0:1]
	v_fma_f64 v[0:1], v[162:163], s[10:11], v[0:1]
	;; [unrolled: 1-line block ×6, first 2 shown]
	v_fma_f64 v[148:149], v[182:183], 0.5, v[150:151]
	v_fma_f64 v[150:151], v[184:185], s[8:9], v[164:165]
	v_fma_f64 v[178:179], v[178:179], 0.5, v[172:173]
	v_fma_f64 v[180:181], v[180:181], s[10:11], v[174:175]
	v_fma_f64 v[10:11], v[8:9], s[10:11], v[6:7]
	v_fma_f64 v[6:7], v[8:9], s[8:9], v[6:7]
	v_fma_f64 v[8:9], v[191:192], 0.5, v[176:177]
	v_fma_f64 v[176:177], v[189:190], 0.5, v[187:188]
	v_fma_f64 v[182:183], v[158:159], s[8:9], v[193:194]
	v_fma_f64 v[184:185], v[156:157], s[10:11], v[195:196]
	v_lshl_add_u32 v190, v253, 4, v254
	v_lshl_add_u32 v189, v253, 4, v254
	v_add_f64_e32 v[132:133], v[160:161], v[146:147]
	v_add_f64_e32 v[134:135], v[166:167], v[144:145]
	v_add_f64_e64 v[164:165], v[160:161], -v[146:147]
	v_add_f64_e64 v[166:167], v[166:167], -v[144:145]
	v_add_f64_e32 v[152:153], v[128:129], v[136:137]
	v_add_f64_e32 v[154:155], v[130:131], v[138:139]
	v_add_f64_e64 v[140:141], v[128:129], -v[136:137]
	v_add_f64_e64 v[142:143], v[130:131], -v[138:139]
	v_add_f64_e32 v[172:173], v[197:198], v[148:149]
	v_add_f64_e32 v[168:169], v[0:1], v[150:151]
	;; [unrolled: 1-line block ×4, first 2 shown]
	v_add_f64_e64 v[160:161], v[197:198], -v[148:149]
	v_add_f64_e64 v[156:157], v[0:1], -v[150:151]
	;; [unrolled: 1-line block ×3, first 2 shown]
	v_add_f64_e32 v[148:149], v[199:200], v[8:9]
	v_add_f64_e32 v[150:151], v[10:11], v[176:177]
	;; [unrolled: 1-line block ×4, first 2 shown]
	v_add_f64_e64 v[158:159], v[2:3], -v[180:181]
	v_add_f64_e64 v[136:137], v[199:200], -v[8:9]
	;; [unrolled: 1-line block ×5, first 2 shown]
	ds_store_b128 v190, v[132:135]
	ds_store_b128 v189, v[172:175] offset:3264
	ds_store_b128 v189, v[152:155] offset:1632
	;; [unrolled: 1-line block ×11, first 2 shown]
	global_wb scope:SCOPE_SE
	s_wait_storecnt_dscnt 0x0
	s_barrier_signal -1
	s_barrier_wait -1
	global_inv scope:SCOPE_SE
	s_and_saveexec_b32 s2, vcc_lo
	s_cbranch_execz .LBB0_9
; %bb.8:
	global_load_b128 v[0:3], v255, s[12:13] offset:19584
	s_add_nc_u64 s[0:1], s[12:13], 0x4c80
	s_clause 0x4
	global_load_b128 v[176:179], v255, s[0:1] offset:1152
	global_load_b128 v[180:183], v255, s[0:1] offset:2304
	;; [unrolled: 1-line block ×5, first 2 shown]
	ds_load_b128 v[195:198], v190
	v_dual_mov_b32 v12, v241 :: v_dual_mov_b32 v13, v242
	v_dual_mov_b32 v14, v243 :: v_dual_mov_b32 v15, v244
	s_wait_loadcnt_dscnt 0x500
	v_mul_f64_e32 v[184:185], v[197:198], v[2:3]
	v_mul_f64_e32 v[2:3], v[195:196], v[2:3]
	s_delay_alu instid0(VALU_DEP_2) | instskip(NEXT) | instid1(VALU_DEP_2)
	v_fma_f64 v[195:196], v[195:196], v[0:1], -v[184:185]
	v_fma_f64 v[197:198], v[197:198], v[0:1], v[2:3]
	ds_store_b128 v190, v[195:198]
	ds_load_b128 v[0:3], v189 offset:1152
	ds_load_b128 v[195:198], v189 offset:2304
	s_wait_loadcnt_dscnt 0x401
	v_mul_f64_e32 v[184:185], v[2:3], v[178:179]
	v_mul_f64_e32 v[178:179], v[0:1], v[178:179]
	s_wait_loadcnt_dscnt 0x300
	v_mul_f64_e32 v[187:188], v[197:198], v[182:183]
	v_mul_f64_e32 v[199:200], v[195:196], v[182:183]
	s_delay_alu instid0(VALU_DEP_4) | instskip(NEXT) | instid1(VALU_DEP_4)
	v_fma_f64 v[0:1], v[0:1], v[176:177], -v[184:185]
	v_fma_f64 v[2:3], v[2:3], v[176:177], v[178:179]
	ds_load_b128 v[176:179], v189 offset:3456
	ds_load_b128 v[182:185], v189 offset:4608
	v_fma_f64 v[195:196], v[195:196], v[180:181], -v[187:188]
	v_fma_f64 v[197:198], v[197:198], v[180:181], v[199:200]
	s_wait_loadcnt_dscnt 0x201
	v_mul_f64_e32 v[201:202], v[178:179], v[6:7]
	v_mul_f64_e32 v[6:7], v[176:177], v[6:7]
	s_wait_loadcnt_dscnt 0x100
	v_mul_f64_e32 v[180:181], v[184:185], v[10:11]
	v_mul_f64_e32 v[10:11], v[182:183], v[10:11]
	s_delay_alu instid0(VALU_DEP_4)
	v_fma_f64 v[176:177], v[176:177], v[4:5], -v[201:202]
	ds_load_b128 v[199:202], v189 offset:5760
	v_fma_f64 v[178:179], v[178:179], v[4:5], v[6:7]
	global_load_b128 v[4:7], v255, s[0:1] offset:6912
	v_fma_f64 v[180:181], v[182:183], v[8:9], -v[180:181]
	v_fma_f64 v[182:183], v[184:185], v[8:9], v[10:11]
	ds_load_b128 v[8:11], v189 offset:6912
	s_wait_loadcnt_dscnt 0x101
	v_mul_f64_e32 v[184:185], v[201:202], v[193:194]
	v_mul_f64_e32 v[187:188], v[199:200], v[193:194]
	s_delay_alu instid0(VALU_DEP_2) | instskip(NEXT) | instid1(VALU_DEP_2)
	v_fma_f64 v[199:200], v[199:200], v[191:192], -v[184:185]
	v_fma_f64 v[201:202], v[201:202], v[191:192], v[187:188]
	global_load_b128 v[191:194], v255, s[0:1] offset:8064
	ds_load_b128 v[203:206], v189 offset:8064
	ds_load_b128 v[207:210], v189 offset:9216
	s_wait_loadcnt_dscnt 0x102
	v_mul_f64_e32 v[184:185], v[10:11], v[6:7]
	v_mul_f64_e32 v[187:188], v[8:9], v[6:7]
	s_delay_alu instid0(VALU_DEP_2) | instskip(NEXT) | instid1(VALU_DEP_2)
	v_fma_f64 v[6:7], v[8:9], v[4:5], -v[184:185]
	v_fma_f64 v[8:9], v[10:11], v[4:5], v[187:188]
	s_wait_loadcnt_dscnt 0x1
	v_mul_f64_e32 v[4:5], v[205:206], v[193:194]
	v_mul_f64_e32 v[10:11], v[203:204], v[193:194]
	s_delay_alu instid0(VALU_DEP_2) | instskip(NEXT) | instid1(VALU_DEP_2)
	v_fma_f64 v[203:204], v[203:204], v[191:192], -v[4:5]
	v_fma_f64 v[205:206], v[205:206], v[191:192], v[10:11]
	s_clause 0x1
	global_load_b128 v[191:194], v255, s[0:1] offset:9216
	global_load_b128 v[211:214], v255, s[0:1] offset:10368
	s_wait_loadcnt_dscnt 0x100
	v_mul_f64_e32 v[4:5], v[209:210], v[193:194]
	v_mul_f64_e32 v[10:11], v[207:208], v[193:194]
	s_delay_alu instid0(VALU_DEP_2) | instskip(NEXT) | instid1(VALU_DEP_2)
	v_fma_f64 v[207:208], v[207:208], v[191:192], -v[4:5]
	v_fma_f64 v[209:210], v[209:210], v[191:192], v[10:11]
	ds_load_b128 v[191:194], v189 offset:10368
	ds_load_b128 v[215:218], v189 offset:11520
	s_wait_loadcnt_dscnt 0x1
	v_mul_f64_e32 v[4:5], v[193:194], v[213:214]
	v_mul_f64_e32 v[10:11], v[191:192], v[213:214]
	s_delay_alu instid0(VALU_DEP_2) | instskip(NEXT) | instid1(VALU_DEP_2)
	v_fma_f64 v[191:192], v[191:192], v[211:212], -v[4:5]
	v_fma_f64 v[193:194], v[193:194], v[211:212], v[10:11]
	s_clause 0x1
	global_load_b128 v[211:214], v255, s[0:1] offset:11520
	global_load_b128 v[219:222], v255, s[0:1] offset:12672
	ds_load_b128 v[223:226], v189 offset:12672
	ds_load_b128 v[227:230], v189 offset:13824
	s_wait_loadcnt_dscnt 0x102
	v_mul_f64_e32 v[4:5], v[217:218], v[213:214]
	v_mul_f64_e32 v[10:11], v[215:216], v[213:214]
	s_delay_alu instid0(VALU_DEP_2) | instskip(SKIP_2) | instid1(VALU_DEP_3)
	v_fma_f64 v[213:214], v[215:216], v[211:212], -v[4:5]
	s_wait_loadcnt_dscnt 0x1
	v_mul_f64_e32 v[4:5], v[225:226], v[221:222]
	v_fma_f64 v[215:216], v[217:218], v[211:212], v[10:11]
	v_mul_f64_e32 v[10:11], v[223:224], v[221:222]
	s_delay_alu instid0(VALU_DEP_3)
	v_fma_f64 v[217:218], v[223:224], v[219:220], -v[4:5]
	s_clause 0x1
	global_load_b128 v[221:224], v255, s[0:1] offset:13824
	global_load_b128 v[231:234], v255, s[0:1] offset:14976
	v_fma_f64 v[219:220], v[225:226], v[219:220], v[10:11]
	s_wait_loadcnt_dscnt 0x100
	v_mul_f64_e32 v[4:5], v[229:230], v[223:224]
	v_mul_f64_e32 v[10:11], v[227:228], v[223:224]
	s_delay_alu instid0(VALU_DEP_2) | instskip(NEXT) | instid1(VALU_DEP_2)
	v_fma_f64 v[223:224], v[227:228], v[221:222], -v[4:5]
	v_fma_f64 v[225:226], v[229:230], v[221:222], v[10:11]
	ds_load_b128 v[227:230], v189 offset:14976
	ds_load_b128 v[235:238], v189 offset:16128
	global_load_b128 v[239:242], v255, s[0:1] offset:17280
	s_wait_loadcnt_dscnt 0x101
	v_mul_f64_e32 v[4:5], v[229:230], v[233:234]
	v_mul_f64_e32 v[10:11], v[227:228], v[233:234]
	s_delay_alu instid0(VALU_DEP_2) | instskip(NEXT) | instid1(VALU_DEP_2)
	v_fma_f64 v[227:228], v[227:228], v[231:232], -v[4:5]
	v_fma_f64 v[229:230], v[229:230], v[231:232], v[10:11]
	global_load_b128 v[231:234], v255, s[0:1] offset:16128
	ds_load_b128 v[243:246], v189 offset:17280
	ds_load_b128 v[247:250], v189 offset:18432
	s_wait_loadcnt_dscnt 0x2
	v_mul_f64_e32 v[4:5], v[237:238], v[233:234]
	v_mul_f64_e32 v[10:11], v[235:236], v[233:234]
	s_delay_alu instid0(VALU_DEP_2) | instskip(SKIP_2) | instid1(VALU_DEP_3)
	v_fma_f64 v[233:234], v[235:236], v[231:232], -v[4:5]
	s_wait_dscnt 0x1
	v_mul_f64_e32 v[4:5], v[245:246], v[241:242]
	v_fma_f64 v[235:236], v[237:238], v[231:232], v[10:11]
	v_mul_f64_e32 v[10:11], v[243:244], v[241:242]
	s_delay_alu instid0(VALU_DEP_3)
	v_fma_f64 v[237:238], v[243:244], v[239:240], -v[4:5]
	global_load_b128 v[241:244], v255, s[0:1] offset:18432
	v_fma_f64 v[239:240], v[245:246], v[239:240], v[10:11]
	s_wait_loadcnt_dscnt 0x0
	v_mul_f64_e32 v[4:5], v[249:250], v[243:244]
	v_mul_f64_e32 v[10:11], v[247:248], v[243:244]
	s_delay_alu instid0(VALU_DEP_2) | instskip(NEXT) | instid1(VALU_DEP_2)
	v_fma_f64 v[243:244], v[247:248], v[241:242], -v[4:5]
	v_fma_f64 v[245:246], v[249:250], v[241:242], v[10:11]
	ds_store_b128 v189, v[0:3] offset:1152
	ds_store_b128 v189, v[195:198] offset:2304
	;; [unrolled: 1-line block ×16, first 2 shown]
	v_dual_mov_b32 v244, v15 :: v_dual_mov_b32 v243, v14
	v_dual_mov_b32 v242, v13 :: v_dual_mov_b32 v241, v12
.LBB0_9:
	s_wait_alu 0xfffe
	s_or_b32 exec_lo, exec_lo, s2
	global_wb scope:SCOPE_SE
	s_wait_dscnt 0x0
	s_barrier_signal -1
	s_barrier_wait -1
	global_inv scope:SCOPE_SE
	s_and_saveexec_b32 s0, vcc_lo
	s_cbranch_execz .LBB0_11
; %bb.10:
	ds_load_b128 v[132:135], v190
	ds_load_b128 v[172:175], v190 offset:1152
	ds_load_b128 v[168:171], v190 offset:2304
	;; [unrolled: 1-line block ×12, first 2 shown]
	s_wait_dscnt 0x0
	scratch_store_b128 off, v[0:3], off offset:32 ; 16-byte Folded Spill
	ds_load_b128 v[0:3], v190 offset:14976
	s_wait_dscnt 0x0
	scratch_store_b128 off, v[0:3], off offset:16 ; 16-byte Folded Spill
	ds_load_b128 v[0:3], v190 offset:16128
	s_wait_dscnt 0x0
	scratch_store_b128 off, v[0:3], off     ; 16-byte Folded Spill
	ds_load_b128 v[241:244], v190 offset:17280
	ds_load_b128 v[44:47], v190 offset:18432
.LBB0_11:
	s_wait_alu 0xfffe
	s_or_b32 exec_lo, exec_lo, s0
	v_add_nc_u32_e32 v176, 0x660, v189
	global_wb scope:SCOPE_SE
	s_wait_storecnt_dscnt 0x0
	s_barrier_signal -1
	s_barrier_wait -1
	global_inv scope:SCOPE_SE
	s_and_saveexec_b32 s33, vcc_lo
	s_cbranch_execz .LBB0_13
; %bb.12:
	s_clause 0x1
	scratch_load_b128 v[100:103], off, off offset:16 th:TH_LOAD_LU
	scratch_load_b128 v[201:204], off, off th:TH_LOAD_LU
	s_clause 0x1
	scratch_store_b128 off, v[104:107], off offset:452
	scratch_store_b64 off, v[252:253], off offset:444
	scratch_load_b128 v[104:107], off, off offset:32 th:TH_LOAD_LU ; 16-byte Folded Reload
	v_add_f64_e64 v[239:240], v[172:173], -v[44:45]
	v_add_f64_e64 v[237:238], v[174:175], -v[46:47]
	s_mov_b32 s22, 0xacd6c6b4
	s_mov_b32 s23, 0xbfc7851a
	v_add_f64_e64 v[38:39], v[144:145], -v[140:141]
	v_add_f64_e64 v[233:234], v[168:169], -v[241:242]
	v_add_f64_e32 v[229:230], v[46:47], v[174:175]
	v_add_f64_e32 v[231:232], v[44:45], v[172:173]
	v_add_f64_e64 v[14:15], v[146:147], -v[142:143]
	s_mov_b32 s54, 0xeb564b22
	s_mov_b32 s42, 0x923c349f
	;; [unrolled: 1-line block ×8, first 2 shown]
	v_add_f64_e64 v[60:61], v[148:149], -v[136:137]
	v_add_f64_e64 v[235:236], v[170:171], -v[243:244]
	v_add_f64_e32 v[221:222], v[243:244], v[170:171]
	s_clause 0x1
	scratch_store_b128 off, v[241:244], off offset:472
	scratch_store_b128 off, v[44:47], off offset:528
	s_mov_b32 s44, 0x2a9d6da3
	s_mov_b32 s2, 0x370991
	;; [unrolled: 1-line block ×4, first 2 shown]
	v_add_f64_e64 v[52:53], v[150:151], -v[138:139]
	s_clause 0x1
	scratch_store_b32 off, v253, off offset:440
	scratch_store_b32 off, v254, off offset:468
	s_mov_b32 s28, 0x4363dd80
	s_mov_b32 s29, 0xbfe0d888
	v_add_f64_e32 v[225:226], v[241:242], v[168:169]
	v_add_f64_e64 v[48:49], v[152:153], -v[128:129]
	s_mov_b32 s30, 0x7c9e640b
	s_mov_b32 s8, 0x910ea3b9
	;; [unrolled: 1-line block ×4, first 2 shown]
	v_add_f64_e32 v[251:252], v[134:135], v[174:175]
	s_mov_b32 s20, 0x2b2883cd
	s_wait_alu 0xfffe
	v_mul_f64_e32 v[10:11], s[22:23], v[239:240]
	v_mul_f64_e32 v[2:3], s[22:23], v[237:238]
	;; [unrolled: 1-line block ×9, first 2 shown]
	s_mov_b32 s21, 0x3fdc86fa
	s_mov_b32 s35, 0xbfefdd0d
	;; [unrolled: 1-line block ×8, first 2 shown]
	s_wait_alu 0xfffe
	v_mul_f64_e32 v[68:69], s[46:47], v[233:234]
	v_mul_f64_e32 v[245:246], s[26:27], v[235:236]
	v_mul_f64_e32 v[28:29], s[30:31], v[235:236]
	v_mul_f64_e32 v[70:71], s[46:47], v[235:236]
	s_mov_b32 s36, 0x6c9a05f6
	s_mov_b32 s18, 0x75d4884
	;; [unrolled: 1-line block ×5, first 2 shown]
	v_mul_f64_e32 v[193:194], s[42:43], v[52:53]
	v_add_f64_e64 v[184:185], v[154:155], -v[130:131]
	s_wait_alu 0xfffe
	v_mul_f64_e32 v[12:13], s[36:37], v[237:238]
	v_mul_f64_e32 v[197:198], s[22:23], v[233:234]
	s_mov_b32 s16, 0x6ed5f1bb
	v_dual_mov_b32 v83, v49 :: v_dual_mov_b32 v82, v48
	s_mov_b32 s17, 0xbfe348c8
	s_mov_b32 s41, 0x3feec746
	;; [unrolled: 1-line block ×3, first 2 shown]
	v_add_f64_e32 v[94:95], v[170:171], v[251:252]
	v_add_f64_e32 v[191:192], v[128:129], v[152:153]
	v_fma_f64 v[243:244], v[229:230], s[0:1], v[10:11]
	v_fma_f64 v[36:37], v[231:232], s[0:1], -v[2:3]
	v_fma_f64 v[42:43], v[229:230], s[0:1], -v[10:11]
	v_fma_f64 v[10:11], v[231:232], s[0:1], v[2:3]
	v_mul_f64_e32 v[2:3], s[54:55], v[14:15]
	v_fma_f64 v[22:23], v[221:222], s[2:3], v[4:5]
	v_mul_f64_e32 v[14:15], s[30:31], v[233:234]
	v_fma_f64 v[16:17], v[229:230], s[8:9], v[8:9]
	v_fma_f64 v[32:33], v[231:232], s[8:9], -v[58:59]
	v_fma_f64 v[38:39], v[229:230], s[8:9], -v[8:9]
	v_fma_f64 v[78:79], v[229:230], s[24:25], v[18:19]
	v_fma_f64 v[80:81], v[231:232], s[24:25], -v[20:21]
	v_fma_f64 v[18:19], v[229:230], s[24:25], -v[18:19]
	v_fma_f64 v[92:93], v[231:232], s[24:25], v[20:21]
	v_mul_f64_e32 v[20:21], s[34:35], v[239:240]
	v_fma_f64 v[58:59], v[231:232], s[8:9], v[58:59]
	v_add_f64_e32 v[44:45], v[132:133], v[172:173]
	v_fma_f64 v[96:97], v[221:222], s[8:9], v[68:69]
	v_fma_f64 v[34:35], v[225:226], s[2:3], -v[245:246]
	v_fma_f64 v[245:246], v[225:226], s[2:3], v[245:246]
	v_fma_f64 v[68:69], v[221:222], s[8:9], -v[68:69]
	s_wait_alu 0xfffe
	v_mul_f64_e32 v[64:65], s[40:41], v[235:236]
	s_mov_b32 s39, 0xbfd71e95
	s_mov_b32 s51, 0x3fe9895b
	;; [unrolled: 1-line block ×4, first 2 shown]
	v_add_f64_e32 v[187:188], v[130:131], v[154:155]
	v_mul_f64_e32 v[241:242], s[30:31], v[184:185]
	v_fma_f64 v[66:67], v[231:232], s[16:17], -v[12:13]
	v_fma_f64 v[12:13], v[231:232], s[16:17], v[12:13]
	v_mul_f64_e32 v[46:47], s[30:31], v[48:49]
	v_add_f64_e32 v[180:181], v[150:151], v[138:139]
	v_mul_f64_e32 v[247:248], s[42:43], v[60:61]
	scratch_store_b64 off, v[40:41], off offset:488 ; 8-byte Folded Spill
	v_fma_f64 v[40:41], v[221:222], s[2:3], -v[4:5]
	v_mul_f64_e32 v[4:5], s[44:45], v[60:61]
	s_mov_b32 s49, 0xbfeca52d
	s_mov_b32 s48, s30
	v_add_f64_e32 v[24:25], v[134:135], v[243:244]
	v_add_f64_e32 v[36:37], v[132:133], v[36:37]
	;; [unrolled: 1-line block ×4, first 2 shown]
	scratch_store_b64 off, v[2:3], off offset:496 ; 8-byte Folded Spill
	v_mul_f64_e32 v[249:250], s[36:37], v[239:240]
	v_fma_f64 v[74:75], v[221:222], s[20:21], v[14:15]
	v_add_f64_e32 v[16:17], v[134:135], v[16:17]
	v_add_f64_e32 v[32:33], v[132:133], v[32:33]
	v_fma_f64 v[14:15], v[221:222], s[20:21], -v[14:15]
	v_dual_mov_b32 v6, v60 :: v_dual_mov_b32 v7, v61
	v_add_f64_e32 v[18:19], v[134:135], v[18:19]
	v_add_f64_e32 v[80:81], v[132:133], v[80:81]
	v_add_f64_e32 v[78:79], v[134:135], v[78:79]
	v_add_f64_e32 v[58:59], v[132:133], v[58:59]
	v_add_f64_e32 v[44:45], v[168:169], v[44:45]
	v_mul_f64_e32 v[174:175], s[22:23], v[48:49]
	v_add_f64_e32 v[176:177], v[146:147], v[142:143]
	v_add_f64_e32 v[178:179], v[144:145], v[140:141]
	v_mul_f64_e32 v[172:173], s[22:23], v[184:185]
	v_fma_f64 v[168:169], v[225:226], s[24:25], -v[64:65]
	v_fma_f64 v[64:65], v[225:226], s[24:25], v[64:65]
	scratch_store_b128 off, v[108:111], off offset:544 ; 16-byte Folded Spill
	v_dual_mov_b32 v109, v83 :: v_dual_mov_b32 v108, v82
	v_add_f64_e32 v[66:67], v[132:133], v[66:67]
	v_add_f64_e32 v[98:99], v[132:133], v[12:13]
	v_dual_mov_b32 v13, v7 :: v_dual_mov_b32 v12, v6
	scratch_store_b64 off, v[4:5], off offset:512 ; 8-byte Folded Spill
	v_mul_f64_e32 v[4:5], s[44:45], v[52:53]
	v_add_f64_e32 v[24:25], v[22:23], v[24:25]
	v_mul_f64_e32 v[22:23], s[52:53], v[82:83]
	v_fma_f64 v[82:83], v[225:226], s[20:21], -v[28:29]
	v_add_f64_e32 v[34:35], v[34:35], v[36:37]
	v_add_f64_e32 v[36:37], v[134:135], v[38:39]
	;; [unrolled: 1-line block ×3, first 2 shown]
	v_fma_f64 v[28:29], v[225:226], s[20:21], v[28:29]
	v_add_f64_e32 v[16:17], v[74:75], v[16:17]
	v_fma_f64 v[74:75], v[225:226], s[8:9], -v[70:71]
	v_fma_f64 v[70:71], v[225:226], s[8:9], v[70:71]
	v_fma_f64 v[62:63], v[229:230], s[16:17], v[249:250]
	v_fma_f64 v[72:73], v[229:230], s[16:17], -v[249:250]
	v_add_f64_e32 v[18:19], v[68:69], v[18:19]
	v_add_f64_e32 v[78:79], v[96:97], v[78:79]
	;; [unrolled: 1-line block ×3, first 2 shown]
	v_fma_f64 v[6:7], v[187:188], s[0:1], -v[174:175]
	v_add_f64_e32 v[66:67], v[168:169], v[66:67]
	v_add_f64_e32 v[64:65], v[64:65], v[98:99]
	scratch_store_b64 off, v[4:5], off offset:504 ; 8-byte Folded Spill
	v_dual_mov_b32 v4, v52 :: v_dual_mov_b32 v5, v53
	v_add_f64_e32 v[52:53], v[132:133], v[10:11]
	v_mul_f64_e32 v[10:11], s[22:23], v[60:61]
	v_mul_f64_e32 v[60:61], s[40:41], v[233:234]
	v_add_f64_e32 v[14:15], v[14:15], v[36:37]
	v_dual_mov_b32 v111, v5 :: v_dual_mov_b32 v110, v4
	v_add_f64_e32 v[32:33], v[82:83], v[32:33]
	v_add_f64_e32 v[28:29], v[28:29], v[58:59]
	;; [unrolled: 1-line block ×7, first 2 shown]
	v_fma_f64 v[251:252], v[221:222], s[24:25], v[60:61]
	v_fma_f64 v[60:61], v[221:222], s[24:25], -v[60:61]
	s_delay_alu instid0(VALU_DEP_4) | instskip(NEXT) | instid1(VALU_DEP_3)
	v_add_f64_e32 v[44:45], v[156:157], v[44:45]
	v_add_f64_e32 v[62:63], v[251:252], v[62:63]
	s_delay_alu instid0(VALU_DEP_3)
	v_add_f64_e32 v[60:61], v[60:61], v[72:73]
	s_wait_loadcnt 0x2
	v_add_f64_e64 v[215:216], v[160:161], -v[100:101]
	s_wait_loadcnt 0x1
	v_add_f64_e64 v[223:224], v[164:165], -v[201:202]
	v_add_f64_e64 v[227:228], v[166:167], -v[203:204]
	v_add_f64_e32 v[213:214], v[166:167], v[203:204]
	v_add_f64_e64 v[219:220], v[162:163], -v[102:103]
	v_add_f64_e32 v[217:218], v[164:165], v[201:202]
	v_add_f64_e32 v[205:206], v[162:163], v[102:103]
	s_wait_loadcnt 0x0
	v_add_f64_e64 v[211:212], v[158:159], -v[106:107]
	v_add_f64_e32 v[207:208], v[160:161], v[100:101]
	v_add_f64_e64 v[209:210], v[156:157], -v[104:105]
	v_add_f64_e32 v[199:200], v[104:105], v[156:157]
	v_add_f64_e32 v[195:196], v[106:107], v[158:159]
	v_mul_f64_e32 v[164:165], s[52:53], v[184:185]
	v_mul_f64_e32 v[156:157], s[28:29], v[108:109]
	;; [unrolled: 1-line block ×8, first 2 shown]
	s_wait_alu 0xfffe
	v_mul_f64_e32 v[54:55], s[50:51], v[219:220]
	v_mul_f64_e32 v[2:3], s[36:37], v[211:212]
	;; [unrolled: 1-line block ×15, first 2 shown]
	v_fma_f64 v[76:77], v[213:214], s[8:9], v[0:1]
	v_fma_f64 v[84:85], v[217:218], s[8:9], -v[30:31]
	v_fma_f64 v[38:39], v[213:214], s[8:9], -v[0:1]
	v_fma_f64 v[30:31], v[217:218], s[8:9], v[30:31]
	v_fma_f64 v[82:83], v[207:208], s[18:19], -v[26:27]
	v_fma_f64 v[26:27], v[207:208], s[18:19], v[26:27]
	;; [unrolled: 2-line block ×3, first 2 shown]
	v_mul_f64_e32 v[0:1], s[38:39], v[227:228]
	v_fma_f64 v[36:37], v[217:218], s[10:11], -v[56:57]
	v_fma_f64 v[56:57], v[217:218], s[10:11], v[56:57]
	v_fma_f64 v[80:81], v[217:218], s[18:19], -v[170:171]
	v_fma_f64 v[170:171], v[217:218], s[18:19], v[170:171]
	v_fma_f64 v[251:252], v[213:214], s[2:3], v[86:87]
	v_fma_f64 v[96:97], v[213:214], s[18:19], v[245:246]
	v_fma_f64 v[245:246], v[213:214], s[18:19], -v[245:246]
	v_fma_f64 v[86:87], v[213:214], s[2:3], -v[86:87]
	v_add_f64_e32 v[24:25], v[76:77], v[24:25]
	v_fma_f64 v[76:77], v[205:206], s[18:19], v[90:91]
	v_add_f64_e32 v[38:39], v[38:39], v[40:41]
	v_fma_f64 v[40:41], v[205:206], s[18:19], -v[90:91]
	v_add_f64_e32 v[90:91], v[132:133], v[92:93]
	v_add_f64_e32 v[92:93], v[166:167], v[94:95]
	v_fma_f64 v[94:95], v[229:230], s[10:11], v[20:21]
	v_add_f64_e32 v[30:31], v[30:31], v[52:53]
	v_add_f64_e32 v[34:35], v[84:85], v[34:35]
	v_fma_f64 v[168:169], v[217:218], s[2:3], -v[0:1]
	v_fma_f64 v[0:1], v[217:218], s[2:3], v[0:1]
	v_add_f64_e32 v[36:37], v[36:37], v[32:33]
	v_fma_f64 v[32:33], v[207:208], s[16:17], -v[54:55]
	v_fma_f64 v[54:55], v[207:208], s[16:17], v[54:55]
	v_add_f64_e32 v[28:29], v[56:57], v[28:29]
	v_add_f64_e32 v[74:75], v[80:81], v[74:75]
	v_fma_f64 v[80:81], v[187:188], s[20:21], v[46:47]
	v_fma_f64 v[84:85], v[213:214], s[10:11], v[50:51]
	v_fma_f64 v[50:51], v[213:214], s[10:11], -v[50:51]
	v_mul_f64_e32 v[56:57], s[22:23], v[209:210]
	v_add_f64_e32 v[62:63], v[251:252], v[62:63]
	v_add_f64_e32 v[78:79], v[96:97], v[78:79]
	v_fma_f64 v[96:97], v[205:206], s[20:21], v[72:73]
	v_fma_f64 v[72:73], v[205:206], s[20:21], -v[72:73]
	v_add_f64_e32 v[18:19], v[245:246], v[18:19]
	v_add_f64_e32 v[60:61], v[86:87], v[60:61]
	v_fma_f64 v[46:47], v[187:188], s[20:21], -v[46:47]
	v_mul_f64_e32 v[52:53], s[22:23], v[4:5]
	v_mul_f64_e32 v[166:167], s[38:39], v[12:13]
	;; [unrolled: 1-line block ×4, first 2 shown]
	v_fma_f64 v[4:5], v[191:192], s[0:1], v[172:173]
	v_fma_f64 v[20:21], v[229:230], s[10:11], -v[20:21]
	v_add_f64_e32 v[24:25], v[76:77], v[24:25]
	v_fma_f64 v[76:77], v[195:196], s[16:17], v[88:89]
	v_add_f64_e32 v[40:41], v[40:41], v[38:39]
	v_add_f64_e32 v[70:71], v[70:71], v[90:91]
	v_fma_f64 v[90:91], v[221:222], s[0:1], v[197:198]
	v_add_f64_e32 v[94:95], v[134:135], v[94:95]
	v_add_f64_e32 v[26:27], v[26:27], v[30:31]
	;; [unrolled: 1-line block ×4, first 2 shown]
	v_fma_f64 v[168:169], v[207:208], s[8:9], -v[58:59]
	v_fma_f64 v[58:59], v[207:208], s[8:9], v[58:59]
	v_add_f64_e32 v[64:65], v[0:1], v[64:65]
	v_fma_f64 v[88:89], v[195:196], s[16:17], -v[88:89]
	v_mul_f64_e32 v[82:83], s[54:55], v[211:212]
	v_mul_f64_e32 v[38:39], s[40:41], v[223:224]
	v_add_f64_e32 v[32:33], v[32:33], v[36:37]
	v_add_f64_e32 v[84:85], v[84:85], v[16:17]
	v_fma_f64 v[16:17], v[205:206], s[16:17], v[48:49]
	v_add_f64_e32 v[50:51], v[50:51], v[14:15]
	v_fma_f64 v[48:49], v[205:206], s[16:17], -v[48:49]
	v_fma_f64 v[14:15], v[205:206], s[8:9], v[42:43]
	v_fma_f64 v[42:43], v[205:206], s[8:9], -v[42:43]
	v_fma_f64 v[36:37], v[199:200], s[2:3], -v[8:9]
	v_fma_f64 v[8:9], v[199:200], s[2:3], v[8:9]
	v_add_f64_e32 v[18:19], v[72:73], v[18:19]
	v_mul_f64_e32 v[30:31], s[54:55], v[108:109]
	v_add_f64_e32 v[78:79], v[96:97], v[78:79]
	v_fma_f64 v[72:73], v[180:181], s[0:1], v[10:11]
	v_fma_f64 v[96:97], v[199:200], s[0:1], -v[86:87]
	v_fma_f64 v[10:11], v[180:181], s[0:1], -v[10:11]
	v_mul_f64_e32 v[0:1], s[26:27], v[215:216]
	v_add_f64_e32 v[20:21], v[134:135], v[20:21]
	v_add_f64_e32 v[24:25], v[76:77], v[24:25]
	v_fma_f64 v[76:77], v[207:208], s[20:21], -v[98:99]
	v_add_f64_e32 v[70:71], v[170:171], v[70:71]
	v_add_f64_e32 v[90:91], v[90:91], v[94:95]
	v_fma_f64 v[94:95], v[191:192], s[20:21], v[241:242]
	v_add_f64_e32 v[2:3], v[2:3], v[26:27]
	v_add_f64_e32 v[34:35], v[68:69], v[34:35]
	v_fma_f64 v[68:69], v[191:192], s[20:21], -v[241:242]
	v_add_f64_e32 v[26:27], v[54:55], v[28:29]
	v_fma_f64 v[54:55], v[180:181], s[24:25], v[247:248]
	v_add_f64_e32 v[58:59], v[58:59], v[64:65]
	v_fma_f64 v[64:65], v[182:183], s[24:25], -v[193:194]
	v_add_f64_e32 v[40:41], v[88:89], v[40:41]
	v_fma_f64 v[241:242], v[195:196], s[0:1], v[56:57]
	v_fma_f64 v[56:57], v[195:196], s[0:1], -v[56:57]
	v_add_f64_e32 v[16:17], v[16:17], v[84:85]
	v_fma_f64 v[84:85], v[195:196], s[2:3], v[243:244]
	v_add_f64_e32 v[48:49], v[48:49], v[50:51]
	v_fma_f64 v[50:51], v[195:196], s[10:11], v[249:250]
	v_add_f64_e32 v[14:15], v[14:15], v[62:63]
	v_add_f64_e32 v[88:89], v[162:163], v[92:93]
	v_fma_f64 v[92:93], v[213:214], s[24:25], v[38:39]
	v_fma_f64 v[62:63], v[199:200], s[10:11], -v[82:83]
	v_add_f64_e32 v[66:67], v[168:169], v[66:67]
	v_fma_f64 v[168:169], v[195:196], s[10:11], -v[249:250]
	v_add_f64_e32 v[42:43], v[42:43], v[60:61]
	v_fma_f64 v[60:61], v[199:200], s[10:11], v[82:83]
	v_add_f64_e32 v[32:33], v[36:37], v[32:33]
	v_mul_f64_e32 v[28:29], s[54:55], v[184:185]
	v_fma_f64 v[162:163], v[195:196], s[2:3], -v[243:244]
	v_fma_f64 v[82:83], v[187:188], s[0:1], v[174:175]
	v_mul_f64_e32 v[174:175], s[50:51], v[110:111]
	v_dual_mov_b32 v244, v185 :: v_dual_mov_b32 v243, v184
	v_dual_mov_b32 v185, v13 :: v_dual_mov_b32 v184, v12
	v_fma_f64 v[38:39], v[213:214], s[24:25], -v[38:39]
	v_add_f64_e32 v[24:25], v[80:81], v[24:25]
	v_add_f64_e32 v[74:75], v[76:77], v[74:75]
	v_fma_f64 v[76:77], v[180:181], s[24:25], -v[247:248]
	v_fma_f64 v[80:81], v[191:192], s[0:1], -v[172:173]
	;; [unrolled: 1-line block ×3, first 2 shown]
	v_add_f64_e32 v[2:3], v[94:95], v[2:3]
	scratch_load_b64 v[94:95], off, off offset:496 th:TH_LOAD_LU ; 8-byte Folded Reload
	v_add_f64_e32 v[34:35], v[68:69], v[34:35]
	v_fma_f64 v[68:69], v[207:208], s[20:21], v[98:99]
	scratch_load_b64 v[98:99], off, off offset:512 th:TH_LOAD_LU ; 8-byte Folded Reload
	v_add_f64_e32 v[8:9], v[8:9], v[26:27]
	v_fma_f64 v[26:27], v[176:177], s[10:11], v[253:254]
	v_add_f64_e32 v[36:37], v[46:47], v[40:41]
	v_add_f64_e32 v[78:79], v[241:242], v[78:79]
	;; [unrolled: 1-line block ×3, first 2 shown]
	v_fma_f64 v[46:47], v[205:206], s[2:3], v[0:1]
	v_add_f64_e32 v[16:17], v[84:85], v[16:17]
	v_fma_f64 v[0:1], v[205:206], s[2:3], -v[0:1]
	v_add_f64_e32 v[14:15], v[50:51], v[14:15]
	v_add_f64_e32 v[40:41], v[158:159], v[88:89]
	v_add_f64_e32 v[84:85], v[92:93], v[90:91]
	v_fma_f64 v[90:91], v[187:188], s[10:11], v[30:31]
	v_add_f64_e32 v[62:63], v[62:63], v[66:67]
	v_fma_f64 v[66:67], v[191:192], s[18:19], v[164:165]
	v_add_f64_e32 v[42:43], v[168:169], v[42:43]
	v_add_f64_e32 v[58:59], v[60:61], v[58:59]
	v_add_f64_e64 v[168:169], v[146:147], -v[142:143]
	v_fma_f64 v[88:89], v[182:183], s[24:25], v[193:194]
	v_fma_f64 v[92:93], v[191:192], s[10:11], -v[28:29]
	v_fma_f64 v[60:61], v[176:177], s[10:11], -v[253:254]
	v_add_f64_e32 v[48:49], v[162:163], v[48:49]
	v_fma_f64 v[30:31], v[187:188], s[10:11], -v[30:31]
	v_fma_f64 v[28:29], v[191:192], s[10:11], v[28:29]
	v_dual_mov_b32 v163, v109 :: v_dual_mov_b32 v162, v108
	v_fma_f64 v[108:109], v[182:183], s[2:3], v[251:252]
	v_add_f64_e32 v[24:25], v[54:55], v[24:25]
	v_add_f64_e32 v[74:75], v[96:97], v[74:75]
	;; [unrolled: 1-line block ×3, first 2 shown]
	v_mul_f64_e32 v[80:81], s[36:37], v[227:228]
	v_add_f64_e32 v[8:9], v[4:5], v[8:9]
	v_add_f64_e32 v[36:37], v[76:77], v[36:37]
	v_fma_f64 v[76:77], v[182:183], s[0:1], -v[52:53]
	v_add_f64_e32 v[16:17], v[82:83], v[16:17]
	v_mul_f64_e32 v[82:83], s[48:49], v[223:224]
	v_add_f64_e32 v[46:47], v[46:47], v[84:85]
	v_mul_f64_e32 v[54:55], s[42:43], v[168:169]
	v_add_f64_e32 v[2:3], v[88:89], v[2:3]
	v_add_f64_e32 v[6:7], v[6:7], v[48:49]
	scratch_store_b64 off, v[24:25], off offset:584 ; 8-byte Folded Spill
	v_add_f64_e32 v[24:25], v[64:65], v[34:35]
	v_add_f64_e32 v[34:35], v[68:69], v[70:71]
	s_clause 0x1
	scratch_load_b64 v[70:71], off, off offset:504 th:TH_LOAD_LU
	scratch_load_b64 v[56:57], off, off offset:488 th:TH_LOAD_LU
	v_add_f64_e32 v[74:75], v[92:93], v[74:75]
	v_mul_f64_e32 v[92:93], s[26:27], v[219:220]
	scratch_store_b64 off, v[36:37], off offset:600 ; 8-byte Folded Spill
	v_add_f64_e32 v[36:37], v[154:155], v[40:41]
	v_mul_f64_e32 v[154:155], s[36:37], v[168:169]
	v_add_f64_e32 v[40:41], v[152:153], v[44:45]
	v_fma_f64 v[44:45], v[195:196], s[20:21], v[160:161]
	v_mul_f64_e32 v[152:153], s[50:51], v[12:13]
	s_mov_b32 s51, 0x3fc7851a
	s_mov_b32 s50, s22
	v_fma_f64 v[12:13], v[221:222], s[0:1], -v[197:198]
	scratch_store_b64 off, v[2:3], off offset:616 ; 8-byte Folded Spill
	v_add_f64_e32 v[44:45], v[44:45], v[46:47]
	v_mul_f64_e32 v[46:47], s[38:39], v[239:240]
	v_add_f64_e32 v[12:13], v[12:13], v[20:21]
	s_delay_alu instid0(VALU_DEP_1) | instskip(SKIP_1) | instid1(VALU_DEP_2)
	v_add_f64_e32 v[12:13], v[38:39], v[12:13]
	v_fma_f64 v[38:39], v[207:208], s[2:3], v[92:93]
	v_add_f64_e32 v[0:1], v[0:1], v[12:13]
	s_wait_loadcnt 0x3
	v_fma_f64 v[50:51], v[178:179], s[10:11], -v[94:95]
	scratch_store_b64 off, v[26:27], off offset:560 ; 8-byte Folded Spill
	v_fma_f64 v[26:27], v[187:188], s[18:19], v[22:23]
	v_fma_f64 v[22:23], v[187:188], s[18:19], -v[22:23]
	v_fma_f64 v[68:69], v[178:179], s[10:11], v[94:95]
	scratch_store_b64 off, v[50:51], off offset:568 ; 8-byte Folded Spill
	v_fma_f64 v[50:51], v[191:192], s[18:19], -v[164:165]
	v_add_f64_e32 v[14:15], v[26:27], v[14:15]
	v_mul_f64_e32 v[26:27], s[30:31], v[168:169]
	v_add_f64_e32 v[22:23], v[22:23], v[42:43]
	v_fma_f64 v[42:43], v[182:183], s[0:1], v[52:53]
	v_add_f64_e32 v[52:53], v[66:67], v[58:59]
	v_add_f64_e32 v[66:67], v[90:91], v[78:79]
	v_fma_f64 v[78:79], v[182:183], s[2:3], -v[251:252]
	v_add_f64_e64 v[164:165], v[144:145], -v[140:141]
	v_mul_f64_e32 v[58:59], s[34:35], v[237:238]
	v_mul_f64_e32 v[90:91], s[48:49], v[227:228]
	s_wait_loadcnt 0x1
	v_fma_f64 v[64:65], v[182:183], s[18:19], -v[70:71]
	v_fma_f64 v[48:49], v[182:183], s[18:19], v[70:71]
	s_wait_loadcnt 0x0
	v_fma_f64 v[2:3], v[176:177], s[24:25], v[56:57]
	v_fma_f64 v[245:246], v[176:177], s[24:25], -v[56:57]
	v_add_f64_e32 v[50:51], v[50:51], v[62:63]
	v_fma_f64 v[62:63], v[180:181], s[2:3], v[166:167]
	v_add_f64_e32 v[166:167], v[30:31], v[18:19]
	v_add_f64_e32 v[193:194], v[10:11], v[22:23]
	v_fma_f64 v[10:11], v[178:179], s[20:21], v[26:27]
	v_mul_f64_e32 v[70:71], s[30:31], v[164:165]
	v_fma_f64 v[18:19], v[231:232], s[10:11], v[58:59]
	v_mul_f64_e32 v[158:159], s[36:37], v[164:165]
	v_add_f64_e32 v[4:5], v[64:65], v[32:33]
	v_mul_f64_e32 v[32:33], s[52:53], v[239:240]
	v_add_f64_e32 v[249:250], v[48:49], v[8:9]
	v_mul_f64_e32 v[8:9], s[52:53], v[237:238]
	v_mul_f64_e32 v[48:49], s[48:49], v[237:238]
	v_add_f64_e32 v[241:242], v[76:77], v[50:51]
	v_add_f64_e32 v[22:23], v[62:63], v[66:67]
	scratch_store_b64 off, v[24:25], off offset:592 ; 8-byte Folded Spill
	v_fma_f64 v[24:25], v[199:200], s[0:1], v[86:87]
	scratch_store_b64 off, v[10:11], off offset:512 ; 8-byte Folded Spill
	v_add_f64_e32 v[10:11], v[42:43], v[52:53]
	v_fma_f64 v[42:43], v[229:230], s[2:3], -v[46:47]
	v_mul_f64_e32 v[50:51], s[52:53], v[235:236]
	v_fma_f64 v[247:248], v[176:177], s[20:21], v[70:71]
	v_fma_f64 v[253:254], v[176:177], s[20:21], -v[70:71]
	v_mul_f64_e32 v[64:65], s[40:41], v[227:228]
	v_fma_f64 v[46:47], v[229:230], s[2:3], v[46:47]
	v_add_f64_e32 v[18:19], v[132:133], v[18:19]
	s_wait_alu 0xfffe
	v_mul_f64_e32 v[70:71], s[50:51], v[227:228]
	v_mul_f64_e32 v[62:63], s[48:49], v[211:212]
	v_fma_f64 v[170:171], v[176:177], s[16:17], v[158:159]
	s_clause 0x1
	scratch_store_b64 off, v[2:3], off offset:624
	scratch_store_b64 off, v[4:5], off offset:640
	v_fma_f64 v[30:31], v[229:230], s[18:19], -v[32:33]
	v_fma_f64 v[32:33], v[229:230], s[18:19], v[32:33]
	v_fma_f64 v[56:57], v[231:232], s[18:19], v[8:9]
	v_fma_f64 v[8:9], v[231:232], s[18:19], -v[8:9]
	scratch_store_b64 off, v[22:23], off offset:488 ; 8-byte Folded Spill
	v_fma_f64 v[22:23], v[178:179], s[16:17], -v[154:155]
	scratch_store_b64 off, v[68:69], off offset:608 ; 8-byte Folded Spill
	v_add_f64_e32 v[24:25], v[24:25], v[34:35]
	scratch_store_b64 off, v[10:11], off offset:520 ; 8-byte Folded Spill
	v_add_f64_e32 v[34:35], v[150:151], v[36:37]
	v_add_f64_e32 v[36:37], v[148:149], v[40:41]
	v_fma_f64 v[68:69], v[180:181], s[18:19], -v[98:99]
	v_fma_f64 v[40:41], v[187:188], s[8:9], v[156:157]
	v_mul_f64_e32 v[10:11], s[22:23], v[235:236]
	v_add_f64_e32 v[42:43], v[134:135], v[42:43]
	v_fma_f64 v[88:89], v[225:226], s[18:19], v[50:51]
	v_add_f64_e32 v[46:47], v[134:135], v[46:47]
	v_fma_f64 v[50:51], v[225:226], s[18:19], -v[50:51]
	v_fma_f64 v[94:95], v[217:218], s[24:25], -v[64:65]
	v_fma_f64 v[20:21], v[217:218], s[24:25], v[64:65]
	v_mul_f64_e32 v[64:65], s[40:41], v[215:216]
	v_fma_f64 v[12:13], v[199:200], s[20:21], v[62:63]
	v_mul_f64_e32 v[148:149], s[44:45], v[164:165]
	v_add_f64_e32 v[30:31], v[134:135], v[30:31]
	v_add_f64_e32 v[32:33], v[134:135], v[32:33]
	;; [unrolled: 1-line block ×4, first 2 shown]
	scratch_store_b64 off, v[22:23], off offset:496 ; 8-byte Folded Spill
	v_add_f64_e32 v[22:23], v[78:79], v[74:75]
	scratch_store_b64 off, v[60:61], off offset:576 ; 8-byte Folded Spill
	v_fma_f64 v[60:61], v[180:181], s[18:19], v[98:99]
	v_add_f64_e32 v[34:35], v[146:147], v[34:35]
	v_add_f64_e32 v[36:37], v[144:145], v[36:37]
	;; [unrolled: 1-line block ×3, first 2 shown]
	v_fma_f64 v[6:7], v[178:179], s[24:25], v[54:55]
	v_add_f64_e32 v[150:151], v[28:29], v[24:25]
	v_mul_f64_e32 v[28:29], s[34:35], v[233:234]
	v_add_f64_e32 v[146:147], v[40:41], v[44:45]
	v_mul_f64_e32 v[44:45], s[34:35], v[235:236]
	v_mul_f64_e32 v[40:41], s[52:53], v[233:234]
	v_fma_f64 v[66:67], v[225:226], s[0:1], -v[10:11]
	v_fma_f64 v[10:11], v[225:226], s[0:1], v[10:11]
	v_mul_f64_e32 v[68:69], s[50:51], v[223:224]
	v_mul_f64_e32 v[78:79], s[36:37], v[223:224]
	;; [unrolled: 1-line block ×3, first 2 shown]
	v_fma_f64 v[144:145], v[180:181], s[16:17], v[152:153]
	scratch_store_b64 off, v[22:23], off offset:504 ; 8-byte Folded Spill
	scratch_load_b32 v22, off, off offset:440 ; 4-byte Folded Reload
	v_add_f64_e32 v[2:3], v[60:61], v[16:17]
	v_add_f64_e32 v[34:35], v[142:143], v[34:35]
	;; [unrolled: 1-line block ×3, first 2 shown]
	v_mul_f64_e32 v[16:17], s[48:49], v[239:240]
	v_fma_f64 v[239:240], v[178:179], s[20:21], -v[26:27]
	v_mul_f64_e32 v[26:27], s[36:37], v[235:236]
	v_fma_f64 v[76:77], v[221:222], s[10:11], -v[28:29]
	v_fma_f64 v[28:29], v[221:222], s[10:11], v[28:29]
	v_fma_f64 v[86:87], v[225:226], s[10:11], v[44:45]
	v_fma_f64 v[44:45], v[225:226], s[10:11], -v[44:45]
	v_fma_f64 v[84:85], v[221:222], s[18:19], -v[40:41]
	v_fma_f64 v[40:41], v[221:222], s[18:19], v[40:41]
	v_fma_f64 v[96:97], v[213:214], s[0:1], -v[68:69]
	v_add_f64_e32 v[10:11], v[10:11], v[18:19]
	v_fma_f64 v[18:19], v[213:214], s[0:1], v[68:69]
	v_mul_f64_e32 v[60:61], s[28:29], v[243:244]
	v_mul_f64_e32 v[68:69], s[44:45], v[209:210]
	scratch_store_b64 off, v[2:3], off offset:632 ; 8-byte Folded Spill
	v_add_f64_e32 v[34:35], v[138:139], v[34:35]
	v_add_f64_e32 v[36:37], v[136:137], v[36:37]
	v_fma_f64 v[2:3], v[178:179], s[24:25], -v[54:55]
	v_mul_f64_e32 v[54:55], s[38:39], v[237:238]
	v_add_f64_e32 v[237:238], v[72:73], v[14:15]
	v_fma_f64 v[14:15], v[231:232], s[10:11], -v[58:59]
	v_fma_f64 v[24:25], v[229:230], s[20:21], -v[16:17]
	v_fma_f64 v[58:59], v[231:232], s[20:21], v[48:49]
	v_fma_f64 v[16:17], v[229:230], s[20:21], v[16:17]
	v_fma_f64 v[48:49], v[231:232], s[20:21], -v[48:49]
	v_fma_f64 v[74:75], v[225:226], s[16:17], v[26:27]
	v_fma_f64 v[26:27], v[225:226], s[16:17], -v[26:27]
	v_add_f64_e32 v[28:29], v[28:29], v[32:33]
	v_fma_f64 v[32:33], v[217:218], s[16:17], -v[80:81]
	v_add_f64_e32 v[8:9], v[44:45], v[8:9]
	v_add_f64_e32 v[30:31], v[76:77], v[30:31]
	v_fma_f64 v[76:77], v[213:214], s[16:17], -v[78:79]
	v_fma_f64 v[136:137], v[213:214], s[20:21], -v[82:83]
	v_add_f64_e32 v[42:43], v[84:85], v[42:43]
	v_mul_f64_e32 v[84:85], s[34:35], v[219:220]
	v_fma_f64 v[138:139], v[217:218], s[16:17], v[80:81]
	v_add_f64_e32 v[56:57], v[86:87], v[56:57]
	v_fma_f64 v[44:45], v[213:214], s[20:21], v[82:83]
	v_add_f64_e32 v[40:41], v[40:41], v[46:47]
	v_fma_f64 v[46:47], v[217:218], s[20:21], -v[90:91]
	v_mul_f64_e32 v[80:81], s[46:47], v[209:210]
	v_mul_f64_e32 v[82:83], s[46:47], v[211:212]
	v_add_f64_e32 v[10:11], v[20:21], v[10:11]
	v_fma_f64 v[20:21], v[205:206], s[24:25], v[64:65]
	v_add_f64_e32 v[34:35], v[130:131], v[34:35]
	v_add_f64_e32 v[36:37], v[128:129], v[36:37]
	v_mul_f64_e32 v[128:129], s[36:37], v[243:244]
	v_fma_f64 v[52:53], v[231:232], s[2:3], v[54:55]
	v_fma_f64 v[54:55], v[231:232], s[2:3], -v[54:55]
	v_add_f64_e32 v[14:15], v[132:133], v[14:15]
	v_add_f64_e32 v[24:25], v[134:135], v[24:25]
	;; [unrolled: 1-line block ×5, first 2 shown]
	v_mul_f64_e32 v[134:135], s[34:35], v[215:216]
	v_add_f64_e32 v[8:9], v[32:33], v[8:9]
	v_add_f64_e32 v[30:31], v[76:77], v[30:31]
	v_fma_f64 v[76:77], v[207:208], s[0:1], v[98:99]
	v_add_f64_e32 v[42:43], v[136:137], v[42:43]
	v_add_f64_e32 v[136:137], v[108:109], v[150:151]
	;; [unrolled: 1-line block ×4, first 2 shown]
	v_fma_f64 v[44:45], v[207:208], s[10:11], -v[84:85]
	v_add_f64_e32 v[10:11], v[38:39], v[10:11]
	v_fma_f64 v[38:39], v[195:196], s[18:19], v[68:69]
	v_add_f64_e32 v[34:35], v[106:107], v[34:35]
	v_add_f64_e32 v[36:37], v[104:105], v[36:37]
	scratch_load_b128 v[104:107], off, off offset:452 ; 16-byte Folded Reload
	v_add_f64_e32 v[52:53], v[132:133], v[52:53]
	v_add_f64_e32 v[54:55], v[132:133], v[54:55]
	;; [unrolled: 1-line block ×3, first 2 shown]
	v_mul_f64_e32 v[66:67], s[40:41], v[219:220]
	v_fma_f64 v[132:133], v[217:218], s[0:1], v[70:71]
	v_add_f64_e32 v[58:59], v[74:75], v[58:59]
	v_add_f64_e32 v[26:27], v[26:27], v[48:49]
	v_fma_f64 v[48:49], v[213:214], s[16:17], v[78:79]
	v_fma_f64 v[74:75], v[205:206], s[24:25], -v[64:65]
	v_fma_f64 v[32:33], v[205:206], s[10:11], v[134:135]
	v_mul_f64_e32 v[64:65], s[38:39], v[243:244]
	v_add_f64_e32 v[56:57], v[76:77], v[56:57]
	v_add_f64_e32 v[10:11], v[12:13], v[10:11]
	;; [unrolled: 1-line block ×6, first 2 shown]
	v_fma_f64 v[54:55], v[207:208], s[2:3], -v[92:93]
	v_add_f64_e32 v[14:15], v[94:95], v[14:15]
	v_fma_f64 v[88:89], v[217:218], s[20:21], v[90:91]
	v_fma_f64 v[78:79], v[207:208], s[24:25], v[66:67]
	v_add_f64_e32 v[58:59], v[132:133], v[58:59]
	v_add_f64_e32 v[28:29], v[48:49], v[28:29]
	v_fma_f64 v[48:49], v[207:208], s[0:1], -v[98:99]
	v_mul_f64_e32 v[90:91], s[42:43], v[209:210]
	v_mul_f64_e32 v[92:93], s[42:43], v[211:212]
	v_add_f64_e32 v[32:33], v[32:33], v[40:41]
	v_fma_f64 v[94:95], v[205:206], s[10:11], -v[134:135]
	v_mul_f64_e32 v[98:99], s[36:37], v[162:163]
	v_add_f64_e32 v[134:135], v[253:254], v[193:194]
	v_fma_f64 v[132:133], v[178:179], s[16:17], v[154:155]
	v_add_f64_e32 v[34:35], v[203:204], v[34:35]
	v_add_f64_e32 v[36:37], v[201:202], v[36:37]
	;; [unrolled: 1-line block ×3, first 2 shown]
	v_fma_f64 v[50:51], v[199:200], s[20:21], -v[62:63]
	v_add_f64_e32 v[14:15], v[54:55], v[14:15]
	v_fma_f64 v[54:55], v[195:196], s[20:21], -v[160:161]
	v_add_f64_e32 v[52:53], v[88:89], v[52:53]
	;; [unrolled: 2-line block ×3, first 2 shown]
	v_add_f64_e32 v[8:9], v[48:49], v[8:9]
	v_dual_mov_b32 v78, v184 :: v_dual_mov_b32 v79, v185
	v_fma_f64 v[48:49], v[195:196], s[24:25], v[90:91]
	v_fma_f64 v[40:41], v[199:200], s[24:25], -v[92:93]
	v_add_f64_e32 v[42:43], v[94:95], v[42:43]
	v_fma_f64 v[94:95], v[199:200], s[24:25], v[92:93]
	v_mul_f64_e32 v[76:77], s[30:31], v[78:79]
	v_dual_mov_b32 v92, v110 :: v_dual_mov_b32 v93, v111
	v_fma_f64 v[130:131], v[195:196], s[24:25], -v[90:91]
	v_dual_mov_b32 v90, v184 :: v_dual_mov_b32 v91, v185
	v_mul_f64_e32 v[62:63], s[38:39], v[162:163]
	v_add_f64_e32 v[136:137], v[132:133], v[136:137]
	v_add_f64_e32 v[160:161], v[144:145], v[146:147]
	;; [unrolled: 1-line block ×3, first 2 shown]
	v_fma_f64 v[46:47], v[191:192], s[8:9], -v[60:61]
	v_add_f64_e32 v[14:15], v[50:51], v[14:15]
	v_fma_f64 v[50:51], v[187:188], s[8:9], -v[156:157]
	v_add_f64_e32 v[0:1], v[54:55], v[0:1]
	v_fma_f64 v[54:55], v[191:192], s[8:9], v[60:61]
	v_mul_f64_e32 v[60:61], s[34:35], v[78:79]
	v_fma_f64 v[156:157], v[176:177], s[18:19], v[148:149]
	v_add_f64_e32 v[32:33], v[48:49], v[32:33]
	v_fma_f64 v[48:49], v[191:192], s[16:17], -v[128:129]
	v_add_f64_e32 v[42:43], v[130:131], v[42:43]
	v_add_f64_e32 v[130:131], v[245:246], v[4:5]
	v_add_f64_e32 v[4:5], v[239:240], v[241:242]
	v_fma_f64 v[12:13], v[187:188], s[2:3], v[62:63]
	v_add_f64_e32 v[40:41], v[40:41], v[44:45]
	v_fma_f64 v[44:45], v[182:183], s[16:17], -v[174:175]
	v_add_f64_e32 v[14:15], v[46:47], v[14:15]
	v_fma_f64 v[46:47], v[180:181], s[16:17], -v[152:153]
	v_add_f64_e32 v[0:1], v[50:51], v[0:1]
	v_fma_f64 v[50:51], v[182:183], s[16:17], v[174:175]
	v_add_f64_e32 v[10:11], v[54:55], v[10:11]
	v_fma_f64 v[54:55], v[180:181], s[10:11], v[60:61]
	v_add_f64_e32 v[40:41], v[48:49], v[40:41]
	v_fma_f64 v[48:49], v[176:177], s[16:17], -v[158:159]
	v_add_f64_e32 v[0:1], v[46:47], v[0:1]
	s_wait_loadcnt 0x1
	v_or_b32_e32 v251, 0x480, v22
	v_mul_f64_e32 v[22:23], s[36:37], v[233:234]
	v_mul_f64_e32 v[233:234], s[44:45], v[168:169]
	s_delay_alu instid0(VALU_DEP_2) | instskip(SKIP_1) | instid1(VALU_DEP_3)
	v_fma_f64 v[72:73], v[221:222], s[16:17], -v[22:23]
	v_fma_f64 v[22:23], v[221:222], s[16:17], v[22:23]
	v_fma_f64 v[140:141], v[178:179], s[18:19], v[233:234]
	s_delay_alu instid0(VALU_DEP_3) | instskip(SKIP_1) | instid1(VALU_DEP_4)
	v_add_f64_e32 v[24:25], v[72:73], v[24:25]
	v_mul_f64_e32 v[72:73], s[22:23], v[215:216]
	v_add_f64_e32 v[16:17], v[22:23], v[16:17]
	v_fma_f64 v[22:23], v[217:218], s[0:1], -v[70:71]
	v_mul_f64_e32 v[70:71], s[44:45], v[211:212]
	v_add_f64_e32 v[24:25], v[96:97], v[24:25]
	v_fma_f64 v[86:87], v[205:206], s[0:1], -v[72:73]
	v_add_f64_e32 v[16:17], v[18:19], v[16:17]
	v_fma_f64 v[18:19], v[207:208], s[24:25], -v[66:67]
	v_add_f64_e32 v[22:23], v[22:23], v[26:27]
	v_fma_f64 v[26:27], v[205:206], s[0:1], v[72:73]
	v_fma_f64 v[96:97], v[207:208], s[10:11], v[84:85]
	v_mul_f64_e32 v[84:85], s[40:41], v[243:244]
	v_fma_f64 v[66:67], v[195:196], s[18:19], -v[68:69]
	v_add_f64_e32 v[204:205], v[50:51], v[10:11]
	v_fma_f64 v[72:73], v[199:200], s[18:19], v[70:71]
	v_add_f64_e32 v[24:25], v[74:75], v[24:25]
	v_mul_f64_e32 v[74:75], s[40:41], v[162:163]
	v_add_f64_e32 v[16:17], v[20:21], v[16:17]
	v_fma_f64 v[20:21], v[199:200], s[18:19], -v[70:71]
	v_add_f64_e32 v[18:19], v[18:19], v[22:23]
	v_fma_f64 v[22:23], v[195:196], s[8:9], v[80:81]
	v_add_f64_e32 v[26:27], v[26:27], v[28:29]
	v_fma_f64 v[28:29], v[199:200], s[8:9], -v[82:83]
	v_dual_mov_b32 v80, v110 :: v_dual_mov_b32 v81, v111
	v_add_f64_e32 v[30:31], v[86:87], v[30:31]
	scratch_load_b128 v[108:111], off, off offset:544 ; 16-byte Folded Reload
	v_add_f64_e32 v[52:53], v[96:97], v[52:53]
	v_fma_f64 v[96:97], v[191:192], s[16:17], v[128:129]
	v_mul_f64_e32 v[78:79], s[30:31], v[80:81]
	v_mul_f64_e32 v[68:69], s[34:35], v[80:81]
	v_fma_f64 v[86:87], v[199:200], s[8:9], v[82:83]
	v_fma_f64 v[82:83], v[191:192], s[24:25], v[84:85]
	v_fma_f64 v[70:71], v[187:188], s[2:3], -v[62:63]
	v_add_f64_e32 v[58:59], v[72:73], v[58:59]
	v_fma_f64 v[72:73], v[180:181], s[10:11], -v[60:61]
	v_add_f64_e32 v[60:61], v[172:173], v[166:167]
	v_add_f64_e32 v[140:141], v[140:141], v[204:205]
	;; [unrolled: 1-line block ×3, first 2 shown]
	v_fma_f64 v[80:81], v[187:188], s[24:25], -v[74:75]
	v_add_f64_e32 v[16:17], v[38:39], v[16:17]
	v_fma_f64 v[66:67], v[191:192], s[2:3], v[64:65]
	v_add_f64_e32 v[18:19], v[20:21], v[18:19]
	v_fma_f64 v[20:21], v[187:188], s[24:25], v[74:75]
	v_add_f64_e32 v[22:23], v[22:23], v[26:27]
	v_fma_f64 v[26:27], v[191:192], s[24:25], -v[84:85]
	v_add_f64_e32 v[8:9], v[28:29], v[8:9]
	v_fma_f64 v[28:29], v[187:188], s[16:17], v[98:99]
	v_add_f64_e32 v[30:31], v[88:89], v[30:31]
	v_mul_f64_e32 v[88:89], s[28:29], v[90:91]
	v_mul_f64_e32 v[90:91], s[28:29], v[92:93]
	v_fma_f64 v[92:93], v[187:188], s[16:17], -v[98:99]
	v_add_f64_e32 v[52:53], v[94:95], v[52:53]
	v_dual_mov_b32 v84, v164 :: v_dual_mov_b32 v85, v165
	v_dual_mov_b32 v94, v164 :: v_dual_mov_b32 v95, v165
	v_add_f64_e32 v[56:57], v[86:87], v[56:57]
	v_fma_f64 v[38:39], v[191:192], s[2:3], -v[64:65]
	v_dual_mov_b32 v98, v168 :: v_dual_mov_b32 v99, v169
	v_dual_mov_b32 v86, v168 :: v_dual_mov_b32 v87, v169
	v_mul_f64_e32 v[94:95], s[22:23], v[94:95]
	v_mul_f64_e32 v[62:63], s[28:29], v[84:85]
	s_delay_alu instid0(VALU_DEP_4)
	v_mul_f64_e32 v[98:99], s[22:23], v[98:99]
	v_mul_f64_e32 v[74:75], s[26:27], v[84:85]
	;; [unrolled: 1-line block ×4, first 2 shown]
	v_fma_f64 v[86:87], v[180:181], s[20:21], -v[76:77]
	v_add_f64_e32 v[138:139], v[48:49], v[60:61]
	v_add_f64_e32 v[168:169], v[156:157], v[160:161]
	;; [unrolled: 1-line block ×3, first 2 shown]
	v_fma_f64 v[70:71], v[182:183], s[10:11], v[68:69]
	v_add_f64_e32 v[12:13], v[12:13], v[16:17]
	v_add_f64_e32 v[58:59], v[66:67], v[58:59]
	v_fma_f64 v[16:17], v[182:183], s[10:11], -v[68:69]
	v_add_f64_e32 v[20:21], v[20:21], v[22:23]
	v_fma_f64 v[22:23], v[182:183], s[20:21], -v[78:79]
	v_add_f64_e32 v[8:9], v[26:27], v[8:9]
	v_add_f64_e32 v[28:29], v[28:29], v[32:33]
	v_add_f64_e32 v[30:31], v[80:81], v[30:31]
	v_fma_f64 v[80:81], v[182:183], s[20:21], v[78:79]
	v_add_f64_e32 v[78:79], v[44:45], v[14:15]
	scratch_load_b128 v[44:47], off, off offset:472 th:TH_LOAD_LU ; 16-byte Folded Reload
	v_add_f64_e32 v[42:43], v[92:93], v[42:43]
	v_fma_f64 v[92:93], v[182:183], s[8:9], v[90:91]
	v_fma_f64 v[32:33], v[182:183], s[8:9], -v[90:91]
	v_fma_f64 v[128:129], v[180:181], s[8:9], -v[88:89]
	v_fma_f64 v[26:27], v[180:181], s[8:9], v[88:89]
	v_fma_f64 v[14:15], v[176:177], s[18:19], -v[148:149]
	v_add_f64_e32 v[52:53], v[96:97], v[52:53]
	v_add_f64_e32 v[56:57], v[82:83], v[56:57]
	;; [unrolled: 1-line block ×3, first 2 shown]
	v_fma_f64 v[38:39], v[180:181], s[20:21], v[76:77]
	v_fma_f64 v[76:77], v[178:179], s[18:19], -v[233:234]
	v_fma_f64 v[66:67], v[176:177], s[8:9], -v[62:63]
	v_fma_f64 v[152:153], v[178:179], s[0:1], v[98:99]
	v_fma_f64 v[68:69], v[176:177], s[2:3], -v[74:75]
	v_fma_f64 v[144:145], v[178:179], s[8:9], v[64:65]
	v_fma_f64 v[210:211], v[178:179], s[2:3], v[84:85]
	;; [unrolled: 1-line block ×3, first 2 shown]
	v_fma_f64 v[200:201], v[178:179], s[8:9], -v[64:65]
	v_fma_f64 v[180:181], v[176:177], s[2:3], v[74:75]
	v_fma_f64 v[184:185], v[178:179], s[2:3], -v[84:85]
	v_fma_f64 v[178:179], v[178:179], s[0:1], -v[98:99]
	v_add_f64_e32 v[24:25], v[72:73], v[24:25]
	v_fma_f64 v[72:73], v[176:177], s[0:1], -v[94:95]
	v_add_f64_e32 v[198:199], v[54:55], v[12:13]
	v_add_f64_e32 v[212:213], v[70:71], v[58:59]
	v_fma_f64 v[176:177], v[176:177], s[0:1], v[94:95]
	v_add_f64_e32 v[158:159], v[22:23], v[8:9]
	s_clause 0x1
	scratch_load_b64 v[8:9], off, off offset:560 th:TH_LOAD_LU
	scratch_load_b64 v[10:11], off, off offset:584 th:TH_LOAD_LU
	v_add_f64_e32 v[30:31], v[86:87], v[30:31]
	v_add_f64_e32 v[208:209], v[32:33], v[40:41]
	v_add_f64_e32 v[42:43], v[128:129], v[42:43]
	v_add_f64_e32 v[206:207], v[26:27], v[28:29]
	v_add_f64_e32 v[142:143], v[14:15], v[0:1]
	v_add_f64_e32 v[148:149], v[92:93], v[52:53]
	v_add_f64_e32 v[172:173], v[80:81], v[56:57]
	v_add_f64_e32 v[202:203], v[16:17], v[18:19]
	v_add_f64_e32 v[182:183], v[38:39], v[20:21]
	v_add_f64_e32 v[128:129], v[6:7], v[249:250]
	v_add_f64_e32 v[6:7], v[247:248], v[237:238]
	v_add_f64_e32 v[166:167], v[76:77], v[78:79]
	v_add_f64_e32 v[146:147], v[66:67], v[24:25]
	v_add_f64_e32 v[144:145], v[144:145], v[212:213]
	v_add_f64_e32 v[158:159], v[184:185], v[158:159]
	v_add_f64_e32 v[150:151], v[68:69], v[30:31]
	v_add_f64_e32 v[174:175], v[178:179], v[208:209]
	v_add_f64_e32 v[154:155], v[72:73], v[42:43]
	v_add_f64_e32 v[176:177], v[176:177], v[206:207]
	v_add_f64_e32 v[152:153], v[152:153], v[148:149]
	v_add_f64_e32 v[148:149], v[210:211], v[172:173]
	v_add_f64_e32 v[172:173], v[196:197], v[198:199]
	v_add_f64_e32 v[160:161], v[180:181], v[182:183]
	s_wait_loadcnt 0x2
	v_add_f64_e32 v[34:35], v[46:47], v[34:35]
	v_add_f64_e32 v[36:37], v[44:45], v[36:37]
	s_wait_loadcnt 0x0
	v_add_f64_e32 v[46:47], v[8:9], v[10:11]
	s_clause 0x1
	scratch_load_b64 v[8:9], off, off offset:568 th:TH_LOAD_LU
	scratch_load_b64 v[10:11], off, off offset:592 th:TH_LOAD_LU
	s_wait_loadcnt 0x0
	v_add_f64_e32 v[44:45], v[8:9], v[10:11]
	s_clause 0x1
	scratch_load_b64 v[8:9], off, off offset:576 th:TH_LOAD_LU
	scratch_load_b64 v[10:11], off, off offset:600 th:TH_LOAD_LU
	;; [unrolled: 5-line block ×4, first 2 shown]
	scratch_load_b64 v[252:253], off, off offset:444
	scratch_load_b32 v253, off, off offset:440
	s_wait_loadcnt 0x2
	v_add_f64_e32 v[10:11], v[8:9], v[10:11]
	scratch_load_b64 v[8:9], off, off offset:640 th:TH_LOAD_LU ; 8-byte Folded Reload
	s_wait_loadcnt 0x0
	v_add_f64_e32 v[8:9], v[2:3], v[8:9]
	s_clause 0x2
	scratch_load_b128 v[0:3], off, off offset:528 th:TH_LOAD_LU
	scratch_load_b64 v[12:13], off, off offset:512 th:TH_LOAD_LU
	scratch_load_b64 v[14:15], off, off offset:520 th:TH_LOAD_LU
	s_wait_loadcnt 0x2
	v_add_f64_e32 v[2:3], v[2:3], v[34:35]
	s_wait_loadcnt 0x0
	v_add_f64_e32 v[132:133], v[12:13], v[14:15]
	scratch_load_b64 v[12:13], off, off offset:488 th:TH_LOAD_LU ; 8-byte Folded Reload
	v_add_f64_e32 v[0:1], v[0:1], v[36:37]
	s_wait_loadcnt 0x0
	v_add_f64_e32 v[164:165], v[170:171], v[12:13]
	s_clause 0x1
	scratch_load_b64 v[12:13], off, off offset:496 th:TH_LOAD_LU
	scratch_load_b64 v[14:15], off, off offset:504 th:TH_LOAD_LU
	v_add_f64_e32 v[170:171], v[200:201], v[202:203]
	s_wait_loadcnt 0x0
	v_add_f64_e32 v[162:163], v[12:13], v[14:15]
	scratch_load_b32 v13, off, off offset:468 th:TH_LOAD_LU ; 4-byte Folded Reload
	v_mul_lo_u16 v12, v253, 17
	s_delay_alu instid0(VALU_DEP_1) | instskip(SKIP_1) | instid1(VALU_DEP_1)
	v_and_b32_e32 v12, 0xffff, v12
	s_wait_loadcnt 0x0
	v_lshl_add_u32 v12, v12, 4, v13
	ds_store_b128 v12, v[0:3]
	ds_store_b128 v12, v[152:155] offset:16
	ds_store_b128 v12, v[148:151] offset:32
	;; [unrolled: 1-line block ×16, first 2 shown]
	v_add_nc_u32_e32 v176, 0x660, v189
.LBB0_13:
	s_or_b32 exec_lo, exec_lo, s33
	global_wb scope:SCOPE_SE
	s_wait_storecnt_dscnt 0x0
	s_barrier_signal -1
	s_barrier_wait -1
	global_inv scope:SCOPE_SE
	ds_load_b128 v[0:3], v186 offset:6528
	ds_load_b128 v[4:7], v186 offset:13056
	ds_load_b128 v[8:11], v186 offset:8160
	ds_load_b128 v[44:47], v186 offset:14688
	ds_load_b128 v[88:91], v186 offset:9792
	ds_load_b128 v[128:131], v186 offset:16320
	ds_load_b128 v[132:135], v186 offset:11424
	ds_load_b128 v[136:139], v186 offset:17952
	s_clause 0x3
	scratch_load_b128 v[50:53], off, off offset:112 th:TH_LOAD_LU
	scratch_load_b128 v[70:73], off, off offset:160 th:TH_LOAD_LU
	;; [unrolled: 1-line block ×4, first 2 shown]
	s_mov_b32 s2, 0xe8584caa
	s_mov_b32 s3, 0xbfebb67a
	;; [unrolled: 1-line block ×3, first 2 shown]
	s_wait_alu 0xfffe
	s_mov_b32 s0, s2
	s_wait_loadcnt_dscnt 0x307
	v_mul_f64_e32 v[12:13], v[52:53], v[2:3]
	v_mul_f64_e32 v[14:15], v[52:53], v[0:1]
	scratch_load_b128 v[52:55], off, off offset:48 th:TH_LOAD_LU ; 16-byte Folded Reload
	s_wait_loadcnt_dscnt 0x206
	v_mul_f64_e32 v[16:17], v[58:59], v[6:7]
	v_mul_f64_e32 v[18:19], v[58:59], v[4:5]
	scratch_load_b128 v[58:61], off, off offset:80 th:TH_LOAD_LU ; 16-byte Folded Reload
	s_wait_loadcnt_dscnt 0x205
	v_mul_f64_e32 v[20:21], v[66:67], v[10:11]
	v_mul_f64_e32 v[22:23], v[66:67], v[8:9]
	s_wait_dscnt 0x1
	v_mul_f64_e32 v[36:37], v[72:73], v[134:135]
	v_mul_f64_e32 v[38:39], v[72:73], v[132:133]
	scratch_load_b128 v[66:69], off, off offset:144 th:TH_LOAD_LU ; 16-byte Folded Reload
	v_fma_f64 v[48:49], v[50:51], v[0:1], v[12:13]
	v_fma_f64 v[50:51], v[50:51], v[2:3], -v[14:15]
	ds_load_b128 v[0:3], v186
	v_fma_f64 v[16:17], v[56:57], v[4:5], v[16:17]
	v_fma_f64 v[18:19], v[56:57], v[6:7], -v[18:19]
	ds_load_b128 v[4:7], v186 offset:1632
	v_fma_f64 v[20:21], v[64:65], v[8:9], v[20:21]
	v_fma_f64 v[22:23], v[64:65], v[10:11], -v[22:23]
	v_fma_f64 v[36:37], v[70:71], v[132:133], v[36:37]
	v_fma_f64 v[38:39], v[70:71], v[134:135], -v[38:39]
	s_wait_dscnt 0x1
	v_add_f64_e32 v[64:65], v[0:1], v[48:49]
	s_wait_dscnt 0x0
	s_delay_alu instid0(VALU_DEP_4)
	v_add_f64_e32 v[70:71], v[6:7], v[22:23]
	s_wait_loadcnt 0x2
	v_mul_f64_e32 v[32:33], v[54:55], v[130:131]
	v_mul_f64_e32 v[34:35], v[54:55], v[128:129]
	s_wait_loadcnt 0x1
	v_mul_f64_e32 v[24:25], v[60:61], v[46:47]
	v_mul_f64_e32 v[26:27], v[60:61], v[44:45]
	scratch_load_b128 v[60:63], off, off offset:96 th:TH_LOAD_LU ; 16-byte Folded Reload
	ds_load_b128 v[8:11], v186 offset:3264
	ds_load_b128 v[12:15], v186 offset:4896
	global_wb scope:SCOPE_SE
	s_wait_loadcnt_dscnt 0x0
	s_barrier_signal -1
	s_barrier_wait -1
	global_inv scope:SCOPE_SE
	v_mul_f64_e32 v[40:41], v[68:69], v[138:139]
	v_mul_f64_e32 v[42:43], v[68:69], v[136:137]
	v_add_f64_e32 v[68:69], v[4:5], v[20:21]
	v_add_f64_e32 v[76:77], v[12:13], v[36:37]
	;; [unrolled: 1-line block ×3, first 2 shown]
	v_fma_f64 v[32:33], v[52:53], v[128:129], v[32:33]
	v_fma_f64 v[34:35], v[52:53], v[130:131], -v[34:35]
	v_fma_f64 v[24:25], v[58:59], v[44:45], v[24:25]
	v_fma_f64 v[26:27], v[58:59], v[46:47], -v[26:27]
	v_add_f64_e32 v[46:47], v[50:51], v[18:19]
	v_add_f64_e32 v[44:45], v[48:49], v[16:17]
	v_add_f64_e64 v[48:49], v[48:49], -v[16:17]
	v_fma_f64 v[40:41], v[66:67], v[136:137], v[40:41]
	v_fma_f64 v[42:43], v[66:67], v[138:139], -v[42:43]
	v_add_f64_e64 v[66:67], v[50:51], -v[18:19]
	v_add_f64_e32 v[50:51], v[2:3], v[50:51]
	v_add_f64_e32 v[52:53], v[20:21], v[24:25]
	;; [unrolled: 1-line block ×3, first 2 shown]
	v_fma_f64 v[46:47], v[46:47], -0.5, v[2:3]
	v_add_f64_e64 v[80:81], v[22:23], -v[26:27]
	v_fma_f64 v[44:45], v[44:45], -0.5, v[0:1]
	v_add_f64_e32 v[0:1], v[64:65], v[16:17]
	v_add_f64_e64 v[82:83], v[20:21], -v[24:25]
	v_add_f64_e32 v[2:3], v[50:51], v[18:19]
	v_fma_f64 v[52:53], v[52:53], -0.5, v[4:5]
	v_fma_f64 v[54:55], v[54:55], -0.5, v[6:7]
	s_wait_alu 0xfffe
	v_fma_f64 v[18:19], v[48:49], s[0:1], v[46:47]
	v_fma_f64 v[22:23], v[48:49], s[2:3], v[46:47]
	scratch_load_b32 v48, off, off offset:408 th:TH_LOAD_LU ; 4-byte Folded Reload
	v_fma_f64 v[16:17], v[66:67], s[2:3], v[44:45]
	v_fma_f64 v[20:21], v[66:67], s[0:1], v[44:45]
	v_add_f64_e32 v[4:5], v[68:69], v[24:25]
	v_add_f64_e32 v[6:7], v[70:71], v[26:27]
	s_wait_loadcnt 0x0
	ds_store_b128 v48, v[0:3]
	ds_store_b128 v48, v[16:19] offset:272
	ds_store_b128 v48, v[20:23] offset:544
	v_mul_f64_e32 v[28:29], v[62:63], v[90:91]
	v_mul_f64_e32 v[30:31], v[62:63], v[88:89]
	v_fma_f64 v[24:25], v[80:81], s[2:3], v[52:53]
	v_fma_f64 v[26:27], v[82:83], s[0:1], v[54:55]
	v_add_f64_e32 v[62:63], v[38:39], v[42:43]
	scratch_load_b32 v0, off, off offset:400 th:TH_LOAD_LU ; 4-byte Folded Reload
	v_fma_f64 v[28:29], v[60:61], v[88:89], v[28:29]
	v_fma_f64 v[30:31], v[60:61], v[90:91], -v[30:31]
	v_add_f64_e32 v[60:61], v[36:37], v[40:41]
	v_add_f64_e64 v[88:89], v[38:39], -v[42:43]
	v_add_f64_e64 v[90:91], v[36:37], -v[40:41]
	v_fma_f64 v[62:63], v[62:63], -0.5, v[14:15]
	v_add_f64_e32 v[14:15], v[78:79], v[42:43]
	v_add_f64_e32 v[56:57], v[28:29], v[32:33]
	;; [unrolled: 1-line block ×5, first 2 shown]
	v_add_f64_e64 v[84:85], v[30:31], -v[34:35]
	v_add_f64_e64 v[86:87], v[28:29], -v[32:33]
	v_fma_f64 v[28:29], v[80:81], s[0:1], v[52:53]
	v_fma_f64 v[30:31], v[82:83], s[2:3], v[54:55]
	v_fma_f64 v[60:61], v[60:61], -0.5, v[12:13]
	v_add_f64_e32 v[12:13], v[76:77], v[40:41]
	v_fma_f64 v[42:43], v[90:91], s[0:1], v[62:63]
	v_fma_f64 v[46:47], v[90:91], s[2:3], v[62:63]
	s_wait_loadcnt 0x0
	ds_store_b128 v0, v[4:7]
	ds_store_b128 v0, v[24:27] offset:272
	ds_store_b128 v0, v[28:31] offset:544
	v_fma_f64 v[56:57], v[56:57], -0.5, v[8:9]
	v_fma_f64 v[58:59], v[58:59], -0.5, v[10:11]
	v_add_f64_e32 v[8:9], v[72:73], v[32:33]
	v_add_f64_e32 v[10:11], v[74:75], v[34:35]
	v_fma_f64 v[40:41], v[88:89], s[2:3], v[60:61]
	v_fma_f64 v[44:45], v[88:89], s[0:1], v[60:61]
	scratch_load_b32 v0, off, off offset:392 th:TH_LOAD_LU ; 4-byte Folded Reload
	v_fma_f64 v[32:33], v[84:85], s[2:3], v[56:57]
	v_fma_f64 v[34:35], v[86:87], s[0:1], v[58:59]
	;; [unrolled: 1-line block ×4, first 2 shown]
	s_wait_loadcnt 0x0
	ds_store_b128 v0, v[8:11]
	ds_store_b128 v0, v[32:35] offset:272
	ds_store_b128 v0, v[36:39] offset:544
	scratch_load_b32 v0, off, off offset:384 th:TH_LOAD_LU ; 4-byte Folded Reload
	s_wait_loadcnt 0x0
	ds_store_b128 v0, v[12:15]
	ds_store_b128 v0, v[40:43] offset:272
	ds_store_b128 v0, v[44:47] offset:544
	global_wb scope:SCOPE_SE
	s_wait_dscnt 0x0
	s_barrier_signal -1
	s_barrier_wait -1
	global_inv scope:SCOPE_SE
	ds_load_b128 v[0:3], v186 offset:4896
	ds_load_b128 v[4:7], v186 offset:9792
	;; [unrolled: 1-line block ×10, first 2 shown]
	s_clause 0x6
	scratch_load_b128 v[90:93], off, off offset:240 th:TH_LOAD_LU
	scratch_load_b128 v[84:87], off, off offset:208 th:TH_LOAD_LU
	;; [unrolled: 1-line block ×7, first 2 shown]
	s_wait_loadcnt_dscnt 0x608
	v_mul_f64_e32 v[44:45], v[92:93], v[6:7]
	s_wait_loadcnt_dscnt 0x507
	v_mul_f64_e32 v[48:49], v[86:87], v[10:11]
	v_mul_f64_e32 v[50:51], v[86:87], v[8:9]
	scratch_load_b128 v[86:89], off, off offset:224 th:TH_LOAD_LU ; 16-byte Folded Reload
	s_wait_loadcnt 0x5
	v_mul_f64_e32 v[40:41], v[96:97], v[2:3]
	v_mul_f64_e32 v[42:43], v[96:97], v[0:1]
	scratch_load_b128 v[96:99], off, off offset:272 th:TH_LOAD_LU ; 16-byte Folded Reload
	s_wait_loadcnt_dscnt 0x506
	v_mul_f64_e32 v[54:55], v[82:83], v[12:13]
	s_wait_loadcnt_dscnt 0x404
	v_mul_f64_e32 v[62:63], v[78:79], v[20:21]
	v_mul_f64_e32 v[46:47], v[92:93], v[4:5]
	;; [unrolled: 1-line block ×4, first 2 shown]
	s_wait_loadcnt_dscnt 0x303
	v_mul_f64_e32 v[64:65], v[130:131], v[26:27]
	s_wait_loadcnt_dscnt 0x202
	v_mul_f64_e32 v[68:69], v[102:103], v[30:31]
	v_mul_f64_e32 v[70:71], v[102:103], v[28:29]
	;; [unrolled: 1-line block ×3, first 2 shown]
	v_fma_f64 v[44:45], v[90:91], v[4:5], v[44:45]
	v_fma_f64 v[8:9], v[84:85], v[8:9], v[48:49]
	v_fma_f64 v[10:11], v[84:85], v[10:11], -v[50:51]
	v_fma_f64 v[40:41], v[94:95], v[0:1], v[40:41]
	v_fma_f64 v[42:43], v[94:95], v[2:3], -v[42:43]
	v_fma_f64 v[14:15], v[80:81], v[14:15], -v[54:55]
	;; [unrolled: 1-line block ×4, first 2 shown]
	ds_load_b128 v[0:3], v186
	ds_load_b128 v[4:7], v186 offset:1632
	v_fma_f64 v[12:13], v[80:81], v[12:13], v[52:53]
	v_fma_f64 v[24:25], v[128:129], v[24:25], v[64:65]
	;; [unrolled: 1-line block ×3, first 2 shown]
	v_fma_f64 v[30:31], v[100:101], v[30:31], -v[70:71]
	global_wb scope:SCOPE_SE
	s_wait_loadcnt_dscnt 0x0
	s_barrier_signal -1
	s_barrier_wait -1
	global_inv scope:SCOPE_SE
	v_fma_f64 v[20:21], v[76:77], v[20:21], v[60:61]
	v_fma_f64 v[26:27], v[128:129], v[26:27], -v[66:67]
	v_add_f64_e64 v[44:45], v[0:1], -v[44:45]
	v_add_f64_e64 v[8:9], v[40:41], -v[8:9]
	;; [unrolled: 1-line block ×6, first 2 shown]
	v_fma_f64 v[30:31], v[0:1], 2.0, -v[44:45]
	v_add_f64_e32 v[0:1], v[44:45], v[10:11]
	v_mul_f64_e32 v[56:57], v[88:89], v[18:19]
	v_mul_f64_e32 v[58:59], v[88:89], v[16:17]
	;; [unrolled: 1-line block ×4, first 2 shown]
	s_delay_alu instid0(VALU_DEP_4) | instskip(NEXT) | instid1(VALU_DEP_4)
	v_fma_f64 v[16:17], v[86:87], v[16:17], v[56:57]
	v_fma_f64 v[18:19], v[86:87], v[18:19], -v[58:59]
	v_fma_f64 v[56:57], v[36:37], 2.0, -v[52:53]
	v_fma_f64 v[32:33], v[96:97], v[32:33], v[72:73]
	v_fma_f64 v[34:35], v[96:97], v[34:35], -v[74:75]
	v_fma_f64 v[58:59], v[38:39], 2.0, -v[54:55]
	v_add_f64_e64 v[48:49], v[4:5], -v[16:17]
	v_add_f64_e64 v[50:51], v[6:7], -v[18:19]
	;; [unrolled: 1-line block ×4, first 2 shown]
	v_fma_f64 v[22:23], v[40:41], 2.0, -v[8:9]
	v_add_f64_e64 v[16:17], v[12:13], -v[20:21]
	v_add_f64_e64 v[20:21], v[26:27], -v[34:35]
	v_fma_f64 v[34:35], v[2:3], 2.0, -v[46:47]
	v_fma_f64 v[32:33], v[42:43], 2.0, -v[10:11]
	v_add_f64_e64 v[2:3], v[46:47], -v[8:9]
	v_fma_f64 v[40:41], v[4:5], 2.0, -v[48:49]
	v_fma_f64 v[42:43], v[6:7], 2.0, -v[50:51]
	v_add_f64_e32 v[4:5], v[48:49], v[18:19]
	v_fma_f64 v[14:15], v[14:15], 2.0, -v[18:19]
	v_fma_f64 v[24:25], v[24:25], 2.0, -v[28:29]
	v_add_f64_e64 v[18:19], v[54:55], -v[28:29]
	v_add_f64_e64 v[8:9], v[30:31], -v[22:23]
	v_fma_f64 v[6:7], v[12:13], 2.0, -v[16:17]
	v_add_f64_e64 v[10:11], v[34:35], -v[32:33]
	v_fma_f64 v[26:27], v[26:27], 2.0, -v[20:21]
	v_fma_f64 v[28:29], v[48:49], 2.0, -v[4:5]
	scratch_load_b32 v48, off, off offset:432 th:TH_LOAD_LU ; 4-byte Folded Reload
	v_add_f64_e64 v[14:15], v[42:43], -v[14:15]
	v_fma_f64 v[32:33], v[30:31], 2.0, -v[8:9]
	v_add_f64_e64 v[12:13], v[40:41], -v[6:7]
	v_fma_f64 v[34:35], v[34:35], 2.0, -v[10:11]
	v_add_f64_e64 v[6:7], v[50:51], -v[16:17]
	v_add_f64_e32 v[16:17], v[52:53], v[20:21]
	v_add_f64_e64 v[20:21], v[56:57], -v[24:25]
	v_add_f64_e64 v[22:23], v[58:59], -v[26:27]
	v_fma_f64 v[24:25], v[44:45], 2.0, -v[0:1]
	v_fma_f64 v[26:27], v[46:47], 2.0, -v[2:3]
	s_wait_loadcnt 0x0
	ds_store_b128 v48, v[8:11] offset:1632
	ds_store_b128 v48, v[0:3] offset:2448
	ds_store_b128 v48, v[32:35]
	ds_store_b128 v48, v[24:27] offset:816
	v_fma_f64 v[36:37], v[40:41], 2.0, -v[12:13]
	v_fma_f64 v[38:39], v[42:43], 2.0, -v[14:15]
	;; [unrolled: 1-line block ×7, first 2 shown]
	scratch_load_b32 v0, off, off offset:424 th:TH_LOAD_LU ; 4-byte Folded Reload
	s_wait_loadcnt 0x0
	ds_store_b128 v0, v[36:39]
	ds_store_b128 v0, v[28:31] offset:816
	ds_store_b128 v0, v[12:15] offset:1632
	;; [unrolled: 1-line block ×3, first 2 shown]
	scratch_load_b32 v0, off, off offset:416 th:TH_LOAD_LU ; 4-byte Folded Reload
	s_wait_loadcnt 0x0
	ds_store_b128 v0, v[44:47]
	ds_store_b128 v0, v[40:43] offset:816
	ds_store_b128 v0, v[20:23] offset:1632
	;; [unrolled: 1-line block ×3, first 2 shown]
	global_wb scope:SCOPE_SE
	s_wait_dscnt 0x0
	s_barrier_signal -1
	s_barrier_wait -1
	global_inv scope:SCOPE_SE
	ds_load_b128 v[0:3], v186 offset:9792
	ds_load_b128 v[4:7], v186 offset:16320
	;; [unrolled: 1-line block ×6, first 2 shown]
	s_clause 0x1
	scratch_load_b128 v[78:81], off, off offset:368 th:TH_LOAD_LU
	scratch_load_b128 v[68:71], off, off offset:320 th:TH_LOAD_LU
	s_wait_dscnt 0x5
	v_mul_f64_e32 v[24:25], v[106:107], v[0:1]
	v_mul_f64_e32 v[42:43], v[106:107], v[2:3]
	s_wait_dscnt 0x4
	v_mul_f64_e32 v[26:27], v[122:123], v[4:5]
	v_mul_f64_e32 v[44:45], v[122:123], v[6:7]
	s_wait_dscnt 0x3
	v_mul_f64_e32 v[28:29], v[118:119], v[8:9]
	s_wait_dscnt 0x2
	v_mul_f64_e32 v[30:31], v[126:127], v[12:13]
	v_mul_f64_e32 v[50:51], v[126:127], v[14:15]
	v_fma_f64 v[46:47], v[104:105], v[2:3], -v[24:25]
	v_fma_f64 v[42:43], v[104:105], v[0:1], v[42:43]
	v_fma_f64 v[48:49], v[120:121], v[6:7], -v[26:27]
	v_mul_f64_e32 v[6:7], v[118:119], v[10:11]
	v_fma_f64 v[44:45], v[120:121], v[4:5], v[44:45]
	v_fma_f64 v[10:11], v[116:117], v[10:11], -v[28:29]
	v_fma_f64 v[14:15], v[124:125], v[14:15], -v[30:31]
	ds_load_b128 v[24:27], v186 offset:6528
	ds_load_b128 v[28:31], v186 offset:13056
	;; [unrolled: 1-line block ×4, first 2 shown]
	scratch_load_b128 v[74:77], off, off offset:352 th:TH_LOAD_LU ; 16-byte Folded Reload
	v_fma_f64 v[12:13], v[124:125], v[12:13], v[50:51]
	s_wait_dscnt 0x3
	v_mul_f64_e32 v[54:55], v[114:115], v[26:27]
	v_mul_f64_e32 v[56:57], v[114:115], v[24:25]
	s_wait_dscnt 0x2
	v_mul_f64_e32 v[58:59], v[110:111], v[30:31]
	v_mul_f64_e32 v[60:61], v[110:111], v[28:29]
	v_add_f64_e32 v[0:1], v[46:47], v[48:49]
	v_fma_f64 v[8:9], v[116:117], v[8:9], v[6:7]
	v_add_f64_e32 v[6:7], v[42:43], v[44:45]
	v_add_f64_e64 v[50:51], v[42:43], -v[44:45]
	v_fma_f64 v[24:25], v[112:113], v[24:25], v[54:55]
	v_fma_f64 v[26:27], v[112:113], v[26:27], -v[56:57]
	v_fma_f64 v[28:29], v[108:109], v[28:29], v[58:59]
	v_fma_f64 v[30:31], v[108:109], v[30:31], -v[60:61]
	v_add_f64_e64 v[58:59], v[46:47], -v[48:49]
	s_delay_alu instid0(VALU_DEP_3) | instskip(NEXT) | instid1(VALU_DEP_3)
	v_add_f64_e32 v[54:55], v[24:25], v[28:29]
	v_add_f64_e32 v[56:57], v[26:27], v[30:31]
	s_wait_loadcnt 0x2
	v_mul_f64_e32 v[40:41], v[80:81], v[16:17]
	s_wait_loadcnt 0x1
	v_mul_f64_e32 v[2:3], v[70:71], v[20:21]
	v_mul_f64_e32 v[62:63], v[70:71], v[22:23]
	scratch_load_b128 v[70:73], off, off offset:336 th:TH_LOAD_LU ; 16-byte Folded Reload
	v_mul_f64_e32 v[52:53], v[80:81], v[18:19]
	v_fma_f64 v[18:19], v[78:79], v[18:19], -v[40:41]
	v_fma_f64 v[22:23], v[68:69], v[22:23], -v[2:3]
	v_add_f64_e32 v[2:3], v[10:11], v[14:15]
	v_fma_f64 v[20:21], v[68:69], v[20:21], v[62:63]
	v_fma_f64 v[16:17], v[78:79], v[16:17], v[52:53]
	v_add_f64_e64 v[68:69], v[10:11], -v[14:15]
	s_wait_loadcnt_dscnt 0x101
	v_mul_f64_e32 v[4:5], v[76:77], v[34:35]
	v_mul_f64_e32 v[40:41], v[76:77], v[32:33]
	v_fma_f64 v[0:1], v[0:1], -0.5, v[18:19]
	v_add_f64_e32 v[18:19], v[18:19], v[46:47]
	v_fma_f64 v[52:53], v[2:3], -0.5, v[22:23]
	v_add_f64_e32 v[10:11], v[22:23], v[10:11]
	;; [unrolled: 2-line block ×3, first 2 shown]
	v_fma_f64 v[32:33], v[74:75], v[32:33], v[4:5]
	v_fma_f64 v[34:35], v[74:75], v[34:35], -v[40:41]
	v_add_f64_e32 v[4:5], v[8:9], v[12:13]
	v_add_f64_e64 v[40:41], v[8:9], -v[12:13]
	v_add_f64_e64 v[74:75], v[26:27], -v[30:31]
	v_add_f64_e32 v[8:9], v[20:21], v[8:9]
	v_fma_f64 v[62:63], v[50:51], s[0:1], v[0:1]
	v_fma_f64 v[50:51], v[50:51], s[2:3], v[0:1]
	ds_load_b128 v[0:3], v186
	v_add_f64_e32 v[18:19], v[18:19], v[48:49]
	v_fma_f64 v[22:23], v[58:59], s[0:1], v[60:61]
	v_add_f64_e32 v[16:17], v[16:17], v[44:45]
	v_add_f64_e32 v[14:15], v[10:11], v[14:15]
	;; [unrolled: 1-line block ×3, first 2 shown]
	s_wait_loadcnt_dscnt 0x1
	v_mul_f64_e32 v[64:65], v[72:73], v[38:39]
	v_mul_f64_e32 v[66:67], v[72:73], v[36:37]
	v_fma_f64 v[72:73], v[40:41], s[0:1], v[52:53]
	v_fma_f64 v[40:41], v[40:41], s[2:3], v[52:53]
	s_delay_alu instid0(VALU_DEP_4) | instskip(NEXT) | instid1(VALU_DEP_4)
	v_fma_f64 v[36:37], v[70:71], v[36:37], v[64:65]
	v_fma_f64 v[38:39], v[70:71], v[38:39], -v[66:67]
	v_fma_f64 v[70:71], v[4:5], -0.5, v[20:21]
	ds_load_b128 v[4:7], v186 offset:1632
	s_wait_dscnt 0x1
	v_add_f64_e32 v[52:53], v[0:1], v[24:25]
	v_add_f64_e32 v[26:27], v[2:3], v[26:27]
	v_add_f64_e64 v[24:25], v[24:25], -v[28:29]
	v_fma_f64 v[0:1], v[54:55], -0.5, v[0:1]
	v_fma_f64 v[2:3], v[56:57], -0.5, v[2:3]
	v_mul_f64_e32 v[56:57], s[2:3], v[50:51]
	v_mul_f64_e32 v[50:51], -0.5, v[50:51]
	v_fma_f64 v[20:21], v[58:59], s[2:3], v[60:61]
	v_mul_f64_e32 v[54:55], s[2:3], v[62:63]
	v_mul_f64_e32 v[58:59], 0.5, v[62:63]
	s_wait_dscnt 0x0
	v_add_f64_e32 v[42:43], v[4:5], v[32:33]
	v_add_f64_e32 v[64:65], v[32:33], v[36:37]
	;; [unrolled: 1-line block ×3, first 2 shown]
	v_add_f64_e64 v[46:47], v[34:35], -v[38:39]
	v_add_f64_e32 v[34:35], v[6:7], v[34:35]
	v_add_f64_e64 v[32:33], v[32:33], -v[36:37]
	v_fma_f64 v[60:61], v[68:69], s[2:3], v[70:71]
	v_fma_f64 v[62:63], v[68:69], s[0:1], v[70:71]
	v_mul_f64_e32 v[68:69], 0.5, v[72:73]
	v_add_f64_e32 v[28:29], v[52:53], v[28:29]
	v_add_f64_e32 v[26:27], v[26:27], v[30:31]
	v_fma_f64 v[44:45], v[24:25], s[2:3], v[2:3]
	v_fma_f64 v[48:49], v[22:23], -0.5, v[56:57]
	v_fma_f64 v[50:51], v[22:23], s[0:1], v[50:51]
	v_fma_f64 v[52:53], v[20:21], s[0:1], v[58:59]
	v_add_f64_e32 v[30:31], v[42:43], v[36:37]
	v_fma_f64 v[36:37], v[74:75], s[2:3], v[0:1]
	v_fma_f64 v[42:43], v[24:25], s[0:1], v[2:3]
	v_fma_f64 v[24:25], v[20:21], 0.5, v[54:55]
	v_fma_f64 v[4:5], v[64:65], -0.5, v[4:5]
	v_fma_f64 v[6:7], v[66:67], -0.5, v[6:7]
	v_mul_f64_e32 v[64:65], s[2:3], v[72:73]
	v_mul_f64_e32 v[66:67], s[2:3], v[40:41]
	v_mul_f64_e32 v[40:41], -0.5, v[40:41]
	v_add_f64_e32 v[34:35], v[34:35], v[38:39]
	v_fma_f64 v[38:39], v[74:75], s[0:1], v[0:1]
	v_add_f64_e32 v[0:1], v[28:29], v[16:17]
	v_add_f64_e32 v[2:3], v[26:27], v[18:19]
	;; [unrolled: 1-line block ×4, first 2 shown]
	v_add_f64_e64 v[12:13], v[30:31], -v[12:13]
	v_add_f64_e64 v[30:31], v[44:45], -v[50:51]
	v_fma_f64 v[54:55], v[46:47], s[2:3], v[4:5]
	v_fma_f64 v[56:57], v[32:33], s[0:1], v[6:7]
	v_fma_f64 v[64:65], v[60:61], 0.5, v[64:65]
	v_fma_f64 v[60:61], v[60:61], s[0:1], v[68:69]
	v_fma_f64 v[46:47], v[46:47], s[0:1], v[4:5]
	;; [unrolled: 1-line block ×3, first 2 shown]
	v_fma_f64 v[66:67], v[62:63], -0.5, v[66:67]
	v_fma_f64 v[62:63], v[62:63], s[0:1], v[40:41]
	v_add_f64_e32 v[20:21], v[38:39], v[48:49]
	v_add_f64_e64 v[4:5], v[28:29], -v[16:17]
	v_add_f64_e64 v[6:7], v[26:27], -v[18:19]
	v_add_f64_e32 v[16:17], v[36:37], v[24:25]
	v_add_f64_e64 v[24:25], v[36:37], -v[24:25]
	v_add_f64_e64 v[26:27], v[42:43], -v[52:53]
	;; [unrolled: 1-line block ×3, first 2 shown]
	v_add_f64_e32 v[18:19], v[42:43], v[52:53]
	v_add_f64_e32 v[10:11], v[34:35], v[14:15]
	v_add_f64_e64 v[14:15], v[34:35], -v[14:15]
	v_add_f64_e32 v[32:33], v[54:55], v[64:65]
	v_add_f64_e32 v[34:35], v[56:57], v[60:61]
	v_add_f64_e64 v[40:41], v[54:55], -v[64:65]
	v_add_f64_e64 v[42:43], v[56:57], -v[60:61]
	v_add_f64_e32 v[36:37], v[46:47], v[66:67]
	v_add_f64_e32 v[38:39], v[58:59], v[62:63]
	v_add_f64_e64 v[44:45], v[46:47], -v[66:67]
	v_add_f64_e64 v[46:47], v[58:59], -v[62:63]
	ds_store_b128 v190, v[0:3]
	ds_store_b128 v189, v[20:23] offset:6528
	ds_store_b128 v189, v[4:7] offset:9792
	;; [unrolled: 1-line block ×11, first 2 shown]
	global_wb scope:SCOPE_SE
	s_wait_dscnt 0x0
	s_barrier_signal -1
	s_barrier_wait -1
	global_inv scope:SCOPE_SE
	s_and_b32 exec_lo, exec_lo, vcc_lo
	s_cbranch_execz .LBB0_15
; %bb.14:
	global_load_b128 v[0:3], v255, s[12:13]
	ds_load_b128 v[4:7], v190
	ds_load_b128 v[8:11], v189 offset:1152
	s_mov_b32 s0, 0x1ac5701b
	s_mov_b32 s1, 0x3f4ac570
	s_mul_u64 s[2:3], s[4:5], 0x480
	s_wait_loadcnt_dscnt 0x1
	v_mul_f64_e32 v[12:13], v[6:7], v[2:3]
	v_mul_f64_e32 v[2:3], v[4:5], v[2:3]
	s_delay_alu instid0(VALU_DEP_2) | instskip(NEXT) | instid1(VALU_DEP_2)
	v_fma_f64 v[4:5], v[4:5], v[0:1], v[12:13]
	v_fma_f64 v[0:1], v[0:1], v[6:7], -v[2:3]
	v_mad_co_u64_u32 v[6:7], null, s6, v252, 0
	v_mad_co_u64_u32 v[12:13], null, s4, v253, 0
	s_wait_alu 0xfffe
	s_delay_alu instid0(VALU_DEP_4) | instskip(NEXT) | instid1(VALU_DEP_4)
	v_mul_f64_e32 v[2:3], s[0:1], v[4:5]
	v_mul_f64_e32 v[4:5], s[0:1], v[0:1]
	s_delay_alu instid0(VALU_DEP_3) | instskip(NEXT) | instid1(VALU_DEP_1)
	v_dual_mov_b32 v0, v7 :: v_dual_mov_b32 v1, v13
	v_mad_co_u64_u32 v[13:14], null, s7, v252, v[0:1]
	s_delay_alu instid0(VALU_DEP_1) | instskip(SKIP_1) | instid1(VALU_DEP_1)
	v_mov_b32_e32 v7, v13
	v_mad_co_u64_u32 v[0:1], null, s5, v253, v[1:2]
	v_mov_b32_e32 v13, v0
	s_delay_alu instid0(VALU_DEP_3) | instskip(NEXT) | instid1(VALU_DEP_2)
	v_lshlrev_b64_e32 v[0:1], 4, v[6:7]
	v_lshlrev_b64_e32 v[6:7], 4, v[12:13]
	s_delay_alu instid0(VALU_DEP_2) | instskip(SKIP_1) | instid1(VALU_DEP_3)
	v_add_co_u32 v0, vcc_lo, s14, v0
	s_wait_alu 0xfffd
	v_add_co_ci_u32_e32 v1, vcc_lo, s15, v1, vcc_lo
	s_delay_alu instid0(VALU_DEP_2) | instskip(SKIP_1) | instid1(VALU_DEP_2)
	v_add_co_u32 v6, vcc_lo, v0, v6
	s_wait_alu 0xfffd
	v_add_co_ci_u32_e32 v7, vcc_lo, v1, v7, vcc_lo
	s_delay_alu instid0(VALU_DEP_2)
	v_add_co_u32 v14, vcc_lo, v6, s2
	global_store_b128 v[6:7], v[2:5], off
	global_load_b128 v[2:5], v255, s[12:13] offset:1152
	s_wait_alu 0xfffd
	v_add_co_ci_u32_e32 v15, vcc_lo, s3, v7, vcc_lo
	s_wait_loadcnt_dscnt 0x0
	v_mul_f64_e32 v[12:13], v[10:11], v[4:5]
	v_mul_f64_e32 v[4:5], v[8:9], v[4:5]
	s_delay_alu instid0(VALU_DEP_2) | instskip(NEXT) | instid1(VALU_DEP_2)
	v_fma_f64 v[8:9], v[8:9], v[2:3], v[12:13]
	v_fma_f64 v[4:5], v[2:3], v[10:11], -v[4:5]
	s_delay_alu instid0(VALU_DEP_2) | instskip(NEXT) | instid1(VALU_DEP_2)
	v_mul_f64_e32 v[2:3], s[0:1], v[8:9]
	v_mul_f64_e32 v[4:5], s[0:1], v[4:5]
	global_store_b128 v[14:15], v[2:5], off
	global_load_b128 v[2:5], v255, s[12:13] offset:2304
	ds_load_b128 v[6:9], v189 offset:2304
	ds_load_b128 v[10:13], v189 offset:3456
	s_wait_loadcnt_dscnt 0x1
	v_mul_f64_e32 v[16:17], v[8:9], v[4:5]
	v_mul_f64_e32 v[4:5], v[6:7], v[4:5]
	s_delay_alu instid0(VALU_DEP_2) | instskip(NEXT) | instid1(VALU_DEP_2)
	v_fma_f64 v[6:7], v[6:7], v[2:3], v[16:17]
	v_fma_f64 v[4:5], v[2:3], v[8:9], -v[4:5]
	s_delay_alu instid0(VALU_DEP_2) | instskip(NEXT) | instid1(VALU_DEP_2)
	v_mul_f64_e32 v[2:3], s[0:1], v[6:7]
	v_mul_f64_e32 v[4:5], s[0:1], v[4:5]
	v_add_co_u32 v6, vcc_lo, v14, s2
	s_wait_alu 0xfffd
	v_add_co_ci_u32_e32 v7, vcc_lo, s3, v15, vcc_lo
	s_delay_alu instid0(VALU_DEP_2) | instskip(SKIP_1) | instid1(VALU_DEP_2)
	v_add_co_u32 v14, vcc_lo, v6, s2
	s_wait_alu 0xfffd
	v_add_co_ci_u32_e32 v15, vcc_lo, s3, v7, vcc_lo
	global_store_b128 v[6:7], v[2:5], off
	global_load_b128 v[2:5], v255, s[12:13] offset:3456
	s_wait_loadcnt_dscnt 0x0
	v_mul_f64_e32 v[8:9], v[12:13], v[4:5]
	v_mul_f64_e32 v[4:5], v[10:11], v[4:5]
	s_delay_alu instid0(VALU_DEP_2) | instskip(NEXT) | instid1(VALU_DEP_2)
	v_fma_f64 v[8:9], v[10:11], v[2:3], v[8:9]
	v_fma_f64 v[4:5], v[2:3], v[12:13], -v[4:5]
	s_delay_alu instid0(VALU_DEP_2) | instskip(NEXT) | instid1(VALU_DEP_2)
	v_mul_f64_e32 v[2:3], s[0:1], v[8:9]
	v_mul_f64_e32 v[4:5], s[0:1], v[4:5]
	global_store_b128 v[14:15], v[2:5], off
	global_load_b128 v[2:5], v255, s[12:13] offset:4608
	ds_load_b128 v[6:9], v189 offset:4608
	ds_load_b128 v[10:13], v189 offset:5760
	s_wait_loadcnt_dscnt 0x1
	v_mul_f64_e32 v[16:17], v[8:9], v[4:5]
	v_mul_f64_e32 v[4:5], v[6:7], v[4:5]
	s_delay_alu instid0(VALU_DEP_2) | instskip(NEXT) | instid1(VALU_DEP_2)
	v_fma_f64 v[6:7], v[6:7], v[2:3], v[16:17]
	v_fma_f64 v[4:5], v[2:3], v[8:9], -v[4:5]
	s_delay_alu instid0(VALU_DEP_2) | instskip(NEXT) | instid1(VALU_DEP_2)
	v_mul_f64_e32 v[2:3], s[0:1], v[6:7]
	v_mul_f64_e32 v[4:5], s[0:1], v[4:5]
	v_add_co_u32 v6, vcc_lo, v14, s2
	s_wait_alu 0xfffd
	v_add_co_ci_u32_e32 v7, vcc_lo, s3, v15, vcc_lo
	s_delay_alu instid0(VALU_DEP_2) | instskip(SKIP_1) | instid1(VALU_DEP_2)
	v_add_co_u32 v14, vcc_lo, v6, s2
	s_wait_alu 0xfffd
	v_add_co_ci_u32_e32 v15, vcc_lo, s3, v7, vcc_lo
	global_store_b128 v[6:7], v[2:5], off
	global_load_b128 v[2:5], v255, s[12:13] offset:5760
	s_wait_loadcnt_dscnt 0x0
	v_mul_f64_e32 v[8:9], v[12:13], v[4:5]
	v_mul_f64_e32 v[4:5], v[10:11], v[4:5]
	s_delay_alu instid0(VALU_DEP_2) | instskip(NEXT) | instid1(VALU_DEP_2)
	v_fma_f64 v[8:9], v[10:11], v[2:3], v[8:9]
	v_fma_f64 v[4:5], v[2:3], v[12:13], -v[4:5]
	s_delay_alu instid0(VALU_DEP_2) | instskip(NEXT) | instid1(VALU_DEP_2)
	v_mul_f64_e32 v[2:3], s[0:1], v[8:9]
	v_mul_f64_e32 v[4:5], s[0:1], v[4:5]
	global_store_b128 v[14:15], v[2:5], off
	global_load_b128 v[2:5], v255, s[12:13] offset:6912
	ds_load_b128 v[6:9], v189 offset:6912
	ds_load_b128 v[10:13], v189 offset:8064
	s_wait_loadcnt_dscnt 0x1
	v_mul_f64_e32 v[16:17], v[8:9], v[4:5]
	v_mul_f64_e32 v[4:5], v[6:7], v[4:5]
	s_delay_alu instid0(VALU_DEP_2) | instskip(NEXT) | instid1(VALU_DEP_2)
	v_fma_f64 v[6:7], v[6:7], v[2:3], v[16:17]
	v_fma_f64 v[4:5], v[2:3], v[8:9], -v[4:5]
	s_delay_alu instid0(VALU_DEP_2) | instskip(NEXT) | instid1(VALU_DEP_2)
	v_mul_f64_e32 v[2:3], s[0:1], v[6:7]
	v_mul_f64_e32 v[4:5], s[0:1], v[4:5]
	v_add_co_u32 v6, vcc_lo, v14, s2
	s_wait_alu 0xfffd
	v_add_co_ci_u32_e32 v7, vcc_lo, s3, v15, vcc_lo
	s_delay_alu instid0(VALU_DEP_2) | instskip(SKIP_1) | instid1(VALU_DEP_2)
	v_add_co_u32 v14, vcc_lo, v6, s2
	s_wait_alu 0xfffd
	v_add_co_ci_u32_e32 v15, vcc_lo, s3, v7, vcc_lo
	global_store_b128 v[6:7], v[2:5], off
	global_load_b128 v[2:5], v255, s[12:13] offset:8064
	s_wait_loadcnt_dscnt 0x0
	v_mul_f64_e32 v[8:9], v[12:13], v[4:5]
	v_mul_f64_e32 v[4:5], v[10:11], v[4:5]
	s_delay_alu instid0(VALU_DEP_2) | instskip(NEXT) | instid1(VALU_DEP_2)
	v_fma_f64 v[8:9], v[10:11], v[2:3], v[8:9]
	v_fma_f64 v[4:5], v[2:3], v[12:13], -v[4:5]
	s_delay_alu instid0(VALU_DEP_2) | instskip(NEXT) | instid1(VALU_DEP_2)
	v_mul_f64_e32 v[2:3], s[0:1], v[8:9]
	v_mul_f64_e32 v[4:5], s[0:1], v[4:5]
	global_store_b128 v[14:15], v[2:5], off
	global_load_b128 v[2:5], v255, s[12:13] offset:9216
	ds_load_b128 v[6:9], v189 offset:9216
	ds_load_b128 v[10:13], v189 offset:10368
	s_wait_loadcnt_dscnt 0x1
	v_mul_f64_e32 v[16:17], v[8:9], v[4:5]
	v_mul_f64_e32 v[4:5], v[6:7], v[4:5]
	s_delay_alu instid0(VALU_DEP_2) | instskip(NEXT) | instid1(VALU_DEP_2)
	v_fma_f64 v[6:7], v[6:7], v[2:3], v[16:17]
	v_fma_f64 v[4:5], v[2:3], v[8:9], -v[4:5]
	s_delay_alu instid0(VALU_DEP_2) | instskip(NEXT) | instid1(VALU_DEP_2)
	v_mul_f64_e32 v[2:3], s[0:1], v[6:7]
	v_mul_f64_e32 v[4:5], s[0:1], v[4:5]
	v_add_co_u32 v6, vcc_lo, v14, s2
	s_wait_alu 0xfffd
	v_add_co_ci_u32_e32 v7, vcc_lo, s3, v15, vcc_lo
	s_delay_alu instid0(VALU_DEP_2) | instskip(SKIP_1) | instid1(VALU_DEP_2)
	v_add_co_u32 v14, vcc_lo, v6, s2
	s_wait_alu 0xfffd
	v_add_co_ci_u32_e32 v15, vcc_lo, s3, v7, vcc_lo
	global_store_b128 v[6:7], v[2:5], off
	global_load_b128 v[2:5], v255, s[12:13] offset:10368
	s_wait_loadcnt_dscnt 0x0
	v_mul_f64_e32 v[8:9], v[12:13], v[4:5]
	v_mul_f64_e32 v[4:5], v[10:11], v[4:5]
	s_delay_alu instid0(VALU_DEP_2) | instskip(NEXT) | instid1(VALU_DEP_2)
	v_fma_f64 v[8:9], v[10:11], v[2:3], v[8:9]
	v_fma_f64 v[4:5], v[2:3], v[12:13], -v[4:5]
	s_delay_alu instid0(VALU_DEP_2) | instskip(NEXT) | instid1(VALU_DEP_2)
	v_mul_f64_e32 v[2:3], s[0:1], v[8:9]
	v_mul_f64_e32 v[4:5], s[0:1], v[4:5]
	global_store_b128 v[14:15], v[2:5], off
	global_load_b128 v[2:5], v255, s[12:13] offset:11520
	ds_load_b128 v[6:9], v189 offset:11520
	ds_load_b128 v[10:13], v189 offset:12672
	s_wait_loadcnt_dscnt 0x1
	v_mul_f64_e32 v[16:17], v[8:9], v[4:5]
	v_mul_f64_e32 v[4:5], v[6:7], v[4:5]
	s_delay_alu instid0(VALU_DEP_2) | instskip(NEXT) | instid1(VALU_DEP_2)
	v_fma_f64 v[6:7], v[6:7], v[2:3], v[16:17]
	v_fma_f64 v[4:5], v[2:3], v[8:9], -v[4:5]
	s_delay_alu instid0(VALU_DEP_2) | instskip(NEXT) | instid1(VALU_DEP_2)
	v_mul_f64_e32 v[2:3], s[0:1], v[6:7]
	v_mul_f64_e32 v[4:5], s[0:1], v[4:5]
	v_add_co_u32 v6, vcc_lo, v14, s2
	s_wait_alu 0xfffd
	v_add_co_ci_u32_e32 v7, vcc_lo, s3, v15, vcc_lo
	s_delay_alu instid0(VALU_DEP_2) | instskip(SKIP_1) | instid1(VALU_DEP_2)
	v_add_co_u32 v14, vcc_lo, v6, s2
	s_wait_alu 0xfffd
	v_add_co_ci_u32_e32 v15, vcc_lo, s3, v7, vcc_lo
	global_store_b128 v[6:7], v[2:5], off
	global_load_b128 v[2:5], v255, s[12:13] offset:12672
	s_wait_loadcnt_dscnt 0x0
	v_mul_f64_e32 v[8:9], v[12:13], v[4:5]
	v_mul_f64_e32 v[4:5], v[10:11], v[4:5]
	s_delay_alu instid0(VALU_DEP_2) | instskip(NEXT) | instid1(VALU_DEP_2)
	v_fma_f64 v[8:9], v[10:11], v[2:3], v[8:9]
	v_fma_f64 v[4:5], v[2:3], v[12:13], -v[4:5]
	s_delay_alu instid0(VALU_DEP_2) | instskip(NEXT) | instid1(VALU_DEP_2)
	v_mul_f64_e32 v[2:3], s[0:1], v[8:9]
	v_mul_f64_e32 v[4:5], s[0:1], v[4:5]
	global_store_b128 v[14:15], v[2:5], off
	global_load_b128 v[2:5], v255, s[12:13] offset:13824
	ds_load_b128 v[6:9], v189 offset:13824
	ds_load_b128 v[10:13], v189 offset:14976
	s_wait_loadcnt_dscnt 0x1
	v_mul_f64_e32 v[16:17], v[8:9], v[4:5]
	v_mul_f64_e32 v[4:5], v[6:7], v[4:5]
	s_delay_alu instid0(VALU_DEP_2) | instskip(NEXT) | instid1(VALU_DEP_2)
	v_fma_f64 v[6:7], v[6:7], v[2:3], v[16:17]
	v_fma_f64 v[4:5], v[2:3], v[8:9], -v[4:5]
	s_delay_alu instid0(VALU_DEP_2) | instskip(NEXT) | instid1(VALU_DEP_2)
	v_mul_f64_e32 v[2:3], s[0:1], v[6:7]
	v_mul_f64_e32 v[4:5], s[0:1], v[4:5]
	v_add_co_u32 v6, vcc_lo, v14, s2
	s_wait_alu 0xfffd
	v_add_co_ci_u32_e32 v7, vcc_lo, s3, v15, vcc_lo
	s_delay_alu instid0(VALU_DEP_2) | instskip(SKIP_1) | instid1(VALU_DEP_2)
	v_add_co_u32 v14, vcc_lo, v6, s2
	s_wait_alu 0xfffd
	v_add_co_ci_u32_e32 v15, vcc_lo, s3, v7, vcc_lo
	global_store_b128 v[6:7], v[2:5], off
	global_load_b128 v[2:5], v255, s[12:13] offset:14976
	s_wait_loadcnt_dscnt 0x0
	v_mul_f64_e32 v[8:9], v[12:13], v[4:5]
	v_mul_f64_e32 v[4:5], v[10:11], v[4:5]
	s_delay_alu instid0(VALU_DEP_2) | instskip(NEXT) | instid1(VALU_DEP_2)
	v_fma_f64 v[8:9], v[10:11], v[2:3], v[8:9]
	v_fma_f64 v[4:5], v[2:3], v[12:13], -v[4:5]
	s_delay_alu instid0(VALU_DEP_2) | instskip(NEXT) | instid1(VALU_DEP_2)
	v_mul_f64_e32 v[2:3], s[0:1], v[8:9]
	v_mul_f64_e32 v[4:5], s[0:1], v[4:5]
	global_store_b128 v[14:15], v[2:5], off
	global_load_b128 v[2:5], v255, s[12:13] offset:16128
	ds_load_b128 v[6:9], v189 offset:16128
	ds_load_b128 v[10:13], v189 offset:17280
	s_wait_loadcnt_dscnt 0x1
	v_mul_f64_e32 v[16:17], v[8:9], v[4:5]
	v_mul_f64_e32 v[4:5], v[6:7], v[4:5]
	s_delay_alu instid0(VALU_DEP_2) | instskip(NEXT) | instid1(VALU_DEP_2)
	v_fma_f64 v[6:7], v[6:7], v[2:3], v[16:17]
	v_fma_f64 v[4:5], v[2:3], v[8:9], -v[4:5]
	s_delay_alu instid0(VALU_DEP_2) | instskip(NEXT) | instid1(VALU_DEP_2)
	v_mul_f64_e32 v[2:3], s[0:1], v[6:7]
	v_mul_f64_e32 v[4:5], s[0:1], v[4:5]
	v_add_co_u32 v6, vcc_lo, v14, s2
	s_wait_alu 0xfffd
	v_add_co_ci_u32_e32 v7, vcc_lo, s3, v15, vcc_lo
	global_store_b128 v[6:7], v[2:5], off
	global_load_b128 v[2:5], v255, s[12:13] offset:17280
	v_add_co_u32 v6, vcc_lo, v6, s2
	s_wait_alu 0xfffd
	v_add_co_ci_u32_e32 v7, vcc_lo, s3, v7, vcc_lo
	s_wait_loadcnt_dscnt 0x0
	v_mul_f64_e32 v[8:9], v[12:13], v[4:5]
	v_mul_f64_e32 v[4:5], v[10:11], v[4:5]
	s_delay_alu instid0(VALU_DEP_2) | instskip(NEXT) | instid1(VALU_DEP_2)
	v_fma_f64 v[8:9], v[10:11], v[2:3], v[8:9]
	v_fma_f64 v[4:5], v[2:3], v[12:13], -v[4:5]
	s_delay_alu instid0(VALU_DEP_2) | instskip(NEXT) | instid1(VALU_DEP_2)
	v_mul_f64_e32 v[2:3], s[0:1], v[8:9]
	v_mul_f64_e32 v[4:5], s[0:1], v[4:5]
	global_store_b128 v[6:7], v[2:5], off
	global_load_b128 v[2:5], v255, s[12:13] offset:18432
	ds_load_b128 v[6:9], v189 offset:18432
	s_wait_loadcnt_dscnt 0x0
	v_mul_f64_e32 v[10:11], v[8:9], v[4:5]
	v_mul_f64_e32 v[4:5], v[6:7], v[4:5]
	s_delay_alu instid0(VALU_DEP_2) | instskip(NEXT) | instid1(VALU_DEP_2)
	v_fma_f64 v[6:7], v[6:7], v[2:3], v[10:11]
	v_fma_f64 v[4:5], v[2:3], v[8:9], -v[4:5]
	v_mad_co_u64_u32 v[8:9], null, s4, v251, 0
	s_delay_alu instid0(VALU_DEP_3) | instskip(NEXT) | instid1(VALU_DEP_2)
	v_mul_f64_e32 v[2:3], s[0:1], v[6:7]
	v_mov_b32_e32 v6, v9
	s_delay_alu instid0(VALU_DEP_4) | instskip(NEXT) | instid1(VALU_DEP_2)
	v_mul_f64_e32 v[4:5], s[0:1], v[4:5]
	v_mad_co_u64_u32 v[6:7], null, s5, v251, v[6:7]
	s_delay_alu instid0(VALU_DEP_1) | instskip(NEXT) | instid1(VALU_DEP_1)
	v_mov_b32_e32 v9, v6
	v_lshlrev_b64_e32 v[6:7], 4, v[8:9]
	s_delay_alu instid0(VALU_DEP_1) | instskip(SKIP_1) | instid1(VALU_DEP_2)
	v_add_co_u32 v0, vcc_lo, v0, v6
	s_wait_alu 0xfffd
	v_add_co_ci_u32_e32 v1, vcc_lo, v1, v7, vcc_lo
	global_store_b128 v[0:1], v[2:5], off
.LBB0_15:
	s_nop 0
	s_sendmsg sendmsg(MSG_DEALLOC_VGPRS)
	s_endpgm
	.section	.rodata,"a",@progbits
	.p2align	6, 0x0
	.amdhsa_kernel bluestein_single_fwd_len1224_dim1_dp_op_CI_CI
		.amdhsa_group_segment_fixed_size 39168
		.amdhsa_private_segment_fixed_size 652
		.amdhsa_kernarg_size 104
		.amdhsa_user_sgpr_count 2
		.amdhsa_user_sgpr_dispatch_ptr 0
		.amdhsa_user_sgpr_queue_ptr 0
		.amdhsa_user_sgpr_kernarg_segment_ptr 1
		.amdhsa_user_sgpr_dispatch_id 0
		.amdhsa_user_sgpr_private_segment_size 0
		.amdhsa_wavefront_size32 1
		.amdhsa_uses_dynamic_stack 0
		.amdhsa_enable_private_segment 1
		.amdhsa_system_sgpr_workgroup_id_x 1
		.amdhsa_system_sgpr_workgroup_id_y 0
		.amdhsa_system_sgpr_workgroup_id_z 0
		.amdhsa_system_sgpr_workgroup_info 0
		.amdhsa_system_vgpr_workitem_id 0
		.amdhsa_next_free_vgpr 256
		.amdhsa_next_free_sgpr 58
		.amdhsa_reserve_vcc 1
		.amdhsa_float_round_mode_32 0
		.amdhsa_float_round_mode_16_64 0
		.amdhsa_float_denorm_mode_32 3
		.amdhsa_float_denorm_mode_16_64 3
		.amdhsa_fp16_overflow 0
		.amdhsa_workgroup_processor_mode 1
		.amdhsa_memory_ordered 1
		.amdhsa_forward_progress 0
		.amdhsa_round_robin_scheduling 0
		.amdhsa_exception_fp_ieee_invalid_op 0
		.amdhsa_exception_fp_denorm_src 0
		.amdhsa_exception_fp_ieee_div_zero 0
		.amdhsa_exception_fp_ieee_overflow 0
		.amdhsa_exception_fp_ieee_underflow 0
		.amdhsa_exception_fp_ieee_inexact 0
		.amdhsa_exception_int_div_zero 0
	.end_amdhsa_kernel
	.text
.Lfunc_end0:
	.size	bluestein_single_fwd_len1224_dim1_dp_op_CI_CI, .Lfunc_end0-bluestein_single_fwd_len1224_dim1_dp_op_CI_CI
                                        ; -- End function
	.section	.AMDGPU.csdata,"",@progbits
; Kernel info:
; codeLenInByte = 24152
; NumSgprs: 60
; NumVgprs: 256
; ScratchSize: 652
; MemoryBound: 0
; FloatMode: 240
; IeeeMode: 1
; LDSByteSize: 39168 bytes/workgroup (compile time only)
; SGPRBlocks: 7
; VGPRBlocks: 31
; NumSGPRsForWavesPerEU: 60
; NumVGPRsForWavesPerEU: 256
; Occupancy: 5
; WaveLimiterHint : 1
; COMPUTE_PGM_RSRC2:SCRATCH_EN: 1
; COMPUTE_PGM_RSRC2:USER_SGPR: 2
; COMPUTE_PGM_RSRC2:TRAP_HANDLER: 0
; COMPUTE_PGM_RSRC2:TGID_X_EN: 1
; COMPUTE_PGM_RSRC2:TGID_Y_EN: 0
; COMPUTE_PGM_RSRC2:TGID_Z_EN: 0
; COMPUTE_PGM_RSRC2:TIDIG_COMP_CNT: 0
	.text
	.p2alignl 7, 3214868480
	.fill 96, 4, 3214868480
	.type	__hip_cuid_39469b4fecb10579,@object ; @__hip_cuid_39469b4fecb10579
	.section	.bss,"aw",@nobits
	.globl	__hip_cuid_39469b4fecb10579
__hip_cuid_39469b4fecb10579:
	.byte	0                               ; 0x0
	.size	__hip_cuid_39469b4fecb10579, 1

	.ident	"AMD clang version 19.0.0git (https://github.com/RadeonOpenCompute/llvm-project roc-6.4.0 25133 c7fe45cf4b819c5991fe208aaa96edf142730f1d)"
	.section	".note.GNU-stack","",@progbits
	.addrsig
	.addrsig_sym __hip_cuid_39469b4fecb10579
	.amdgpu_metadata
---
amdhsa.kernels:
  - .args:
      - .actual_access:  read_only
        .address_space:  global
        .offset:         0
        .size:           8
        .value_kind:     global_buffer
      - .actual_access:  read_only
        .address_space:  global
        .offset:         8
        .size:           8
        .value_kind:     global_buffer
      - .actual_access:  read_only
        .address_space:  global
        .offset:         16
        .size:           8
        .value_kind:     global_buffer
      - .actual_access:  read_only
        .address_space:  global
        .offset:         24
        .size:           8
        .value_kind:     global_buffer
      - .actual_access:  read_only
        .address_space:  global
        .offset:         32
        .size:           8
        .value_kind:     global_buffer
      - .offset:         40
        .size:           8
        .value_kind:     by_value
      - .address_space:  global
        .offset:         48
        .size:           8
        .value_kind:     global_buffer
      - .address_space:  global
        .offset:         56
        .size:           8
        .value_kind:     global_buffer
      - .address_space:  global
        .offset:         64
        .size:           8
        .value_kind:     global_buffer
      - .address_space:  global
        .offset:         72
        .size:           8
        .value_kind:     global_buffer
      - .offset:         80
        .size:           4
        .value_kind:     by_value
      - .address_space:  global
        .offset:         88
        .size:           8
        .value_kind:     global_buffer
      - .address_space:  global
        .offset:         96
        .size:           8
        .value_kind:     global_buffer
    .group_segment_fixed_size: 39168
    .kernarg_segment_align: 8
    .kernarg_segment_size: 104
    .language:       OpenCL C
    .language_version:
      - 2
      - 0
    .max_flat_workgroup_size: 204
    .name:           bluestein_single_fwd_len1224_dim1_dp_op_CI_CI
    .private_segment_fixed_size: 652
    .sgpr_count:     60
    .sgpr_spill_count: 0
    .symbol:         bluestein_single_fwd_len1224_dim1_dp_op_CI_CI.kd
    .uniform_work_group_size: 1
    .uses_dynamic_stack: false
    .vgpr_count:     256
    .vgpr_spill_count: 231
    .wavefront_size: 32
    .workgroup_processor_mode: 1
amdhsa.target:   amdgcn-amd-amdhsa--gfx1201
amdhsa.version:
  - 1
  - 2
...

	.end_amdgpu_metadata
